;; amdgpu-corpus repo=ROCm/rocFFT kind=compiled arch=gfx950 opt=O3
	.text
	.amdgcn_target "amdgcn-amd-amdhsa--gfx950"
	.amdhsa_code_object_version 6
	.protected	fft_rtc_back_len1170_factors_2_13_3_5_3_wgs_117_tpt_117_sp_ip_CI_sbrr_dirReg ; -- Begin function fft_rtc_back_len1170_factors_2_13_3_5_3_wgs_117_tpt_117_sp_ip_CI_sbrr_dirReg
	.globl	fft_rtc_back_len1170_factors_2_13_3_5_3_wgs_117_tpt_117_sp_ip_CI_sbrr_dirReg
	.p2align	8
	.type	fft_rtc_back_len1170_factors_2_13_3_5_3_wgs_117_tpt_117_sp_ip_CI_sbrr_dirReg,@function
fft_rtc_back_len1170_factors_2_13_3_5_3_wgs_117_tpt_117_sp_ip_CI_sbrr_dirReg: ; @fft_rtc_back_len1170_factors_2_13_3_5_3_wgs_117_tpt_117_sp_ip_CI_sbrr_dirReg
; %bb.0:
	s_load_dwordx2 s[12:13], s[0:1], 0x18
	s_load_dwordx4 s[4:7], s[0:1], 0x0
	s_load_dwordx2 s[10:11], s[0:1], 0x50
	v_mul_u32_u24_e32 v1, 0x231, v0
	v_add_u32_sdwa v6, s2, v1 dst_sel:DWORD dst_unused:UNUSED_PAD src0_sel:DWORD src1_sel:WORD_1
	s_waitcnt lgkmcnt(0)
	s_load_dwordx2 s[8:9], s[12:13], 0x0
	v_mov_b32_e32 v4, 0
	v_cmp_lt_u64_e64 s[2:3], s[6:7], 2
	v_mov_b32_e32 v7, v4
	s_and_b64 vcc, exec, s[2:3]
	v_mov_b64_e32 v[2:3], 0
	s_cbranch_vccnz .LBB0_8
; %bb.1:
	s_load_dwordx2 s[2:3], s[0:1], 0x10
	s_add_u32 s14, s12, 8
	s_addc_u32 s15, s13, 0
	s_mov_b64 s[16:17], 1
	v_mov_b64_e32 v[2:3], 0
	s_waitcnt lgkmcnt(0)
	s_add_u32 s18, s2, 8
	s_addc_u32 s19, s3, 0
.LBB0_2:                                ; =>This Inner Loop Header: Depth=1
	s_load_dwordx2 s[20:21], s[18:19], 0x0
                                        ; implicit-def: $vgpr8_vgpr9
	s_waitcnt lgkmcnt(0)
	v_or_b32_e32 v5, s21, v7
	v_cmp_ne_u64_e32 vcc, 0, v[4:5]
	s_and_saveexec_b64 s[2:3], vcc
	s_xor_b64 s[22:23], exec, s[2:3]
	s_cbranch_execz .LBB0_4
; %bb.3:                                ;   in Loop: Header=BB0_2 Depth=1
	v_cvt_f32_u32_e32 v1, s20
	v_cvt_f32_u32_e32 v5, s21
	s_sub_u32 s2, 0, s20
	s_subb_u32 s3, 0, s21
	v_fmac_f32_e32 v1, 0x4f800000, v5
	v_rcp_f32_e32 v1, v1
	s_nop 0
	v_mul_f32_e32 v1, 0x5f7ffffc, v1
	v_mul_f32_e32 v5, 0x2f800000, v1
	v_trunc_f32_e32 v5, v5
	v_fmac_f32_e32 v1, 0xcf800000, v5
	v_cvt_u32_f32_e32 v5, v5
	v_cvt_u32_f32_e32 v1, v1
	v_mul_lo_u32 v8, s2, v5
	v_mul_hi_u32 v10, s2, v1
	v_mul_lo_u32 v9, s3, v1
	v_add_u32_e32 v10, v10, v8
	v_mul_lo_u32 v12, s2, v1
	v_add_u32_e32 v13, v10, v9
	v_mul_hi_u32 v8, v1, v12
	v_mul_hi_u32 v11, v1, v13
	v_mul_lo_u32 v10, v1, v13
	v_mov_b32_e32 v9, v4
	v_lshl_add_u64 v[8:9], v[8:9], 0, v[10:11]
	v_mul_hi_u32 v11, v5, v12
	v_mul_lo_u32 v12, v5, v12
	v_add_co_u32_e32 v8, vcc, v8, v12
	v_mul_hi_u32 v10, v5, v13
	s_nop 0
	v_addc_co_u32_e32 v8, vcc, v9, v11, vcc
	v_mov_b32_e32 v9, v4
	s_nop 0
	v_addc_co_u32_e32 v11, vcc, 0, v10, vcc
	v_mul_lo_u32 v10, v5, v13
	v_lshl_add_u64 v[8:9], v[8:9], 0, v[10:11]
	v_add_co_u32_e32 v1, vcc, v1, v8
	v_mul_lo_u32 v10, s2, v1
	s_nop 0
	v_addc_co_u32_e32 v5, vcc, v5, v9, vcc
	v_mul_lo_u32 v8, s2, v5
	v_mul_hi_u32 v9, s2, v1
	v_add_u32_e32 v8, v9, v8
	v_mul_lo_u32 v9, s3, v1
	v_add_u32_e32 v12, v8, v9
	v_mul_hi_u32 v14, v5, v10
	v_mul_lo_u32 v15, v5, v10
	v_mul_hi_u32 v9, v1, v12
	v_mul_lo_u32 v8, v1, v12
	v_mul_hi_u32 v10, v1, v10
	v_mov_b32_e32 v11, v4
	v_lshl_add_u64 v[8:9], v[10:11], 0, v[8:9]
	v_add_co_u32_e32 v8, vcc, v8, v15
	v_mul_hi_u32 v13, v5, v12
	s_nop 0
	v_addc_co_u32_e32 v8, vcc, v9, v14, vcc
	v_mul_lo_u32 v10, v5, v12
	s_nop 0
	v_addc_co_u32_e32 v11, vcc, 0, v13, vcc
	v_mov_b32_e32 v9, v4
	v_lshl_add_u64 v[8:9], v[8:9], 0, v[10:11]
	v_add_co_u32_e32 v1, vcc, v1, v8
	v_mul_hi_u32 v10, v6, v1
	s_nop 0
	v_addc_co_u32_e32 v5, vcc, v5, v9, vcc
	v_mad_u64_u32 v[8:9], s[2:3], v6, v5, 0
	v_mov_b32_e32 v11, v4
	v_lshl_add_u64 v[8:9], v[10:11], 0, v[8:9]
	v_mad_u64_u32 v[12:13], s[2:3], v7, v1, 0
	v_add_co_u32_e32 v1, vcc, v8, v12
	v_mad_u64_u32 v[10:11], s[2:3], v7, v5, 0
	s_nop 0
	v_addc_co_u32_e32 v8, vcc, v9, v13, vcc
	v_mov_b32_e32 v9, v4
	s_nop 0
	v_addc_co_u32_e32 v11, vcc, 0, v11, vcc
	v_lshl_add_u64 v[8:9], v[8:9], 0, v[10:11]
	v_mul_lo_u32 v1, s21, v8
	v_mul_lo_u32 v5, s20, v9
	v_mad_u64_u32 v[10:11], s[2:3], s20, v8, 0
	v_add3_u32 v1, v11, v5, v1
	v_sub_u32_e32 v5, v7, v1
	v_mov_b32_e32 v11, s21
	v_sub_co_u32_e32 v14, vcc, v6, v10
	v_lshl_add_u64 v[12:13], v[8:9], 0, 1
	s_nop 0
	v_subb_co_u32_e64 v5, s[2:3], v5, v11, vcc
	v_subrev_co_u32_e64 v10, s[2:3], s20, v14
	v_subb_co_u32_e32 v1, vcc, v7, v1, vcc
	s_nop 0
	v_subbrev_co_u32_e64 v5, s[2:3], 0, v5, s[2:3]
	v_cmp_le_u32_e64 s[2:3], s21, v5
	v_cmp_le_u32_e32 vcc, s21, v1
	s_nop 0
	v_cndmask_b32_e64 v11, 0, -1, s[2:3]
	v_cmp_le_u32_e64 s[2:3], s20, v10
	s_nop 1
	v_cndmask_b32_e64 v10, 0, -1, s[2:3]
	v_cmp_eq_u32_e64 s[2:3], s21, v5
	s_nop 1
	v_cndmask_b32_e64 v5, v11, v10, s[2:3]
	v_lshl_add_u64 v[10:11], v[8:9], 0, 2
	v_cmp_ne_u32_e64 s[2:3], 0, v5
	s_nop 1
	v_cndmask_b32_e64 v5, v13, v11, s[2:3]
	v_cndmask_b32_e64 v11, 0, -1, vcc
	v_cmp_le_u32_e32 vcc, s20, v14
	s_nop 1
	v_cndmask_b32_e64 v13, 0, -1, vcc
	v_cmp_eq_u32_e32 vcc, s21, v1
	s_nop 1
	v_cndmask_b32_e32 v1, v11, v13, vcc
	v_cmp_ne_u32_e32 vcc, 0, v1
	v_cndmask_b32_e64 v1, v12, v10, s[2:3]
	s_nop 0
	v_cndmask_b32_e32 v9, v9, v5, vcc
	v_cndmask_b32_e32 v8, v8, v1, vcc
.LBB0_4:                                ;   in Loop: Header=BB0_2 Depth=1
	s_andn2_saveexec_b64 s[2:3], s[22:23]
	s_cbranch_execz .LBB0_6
; %bb.5:                                ;   in Loop: Header=BB0_2 Depth=1
	v_cvt_f32_u32_e32 v1, s20
	s_sub_i32 s22, 0, s20
	v_rcp_iflag_f32_e32 v1, v1
	s_nop 0
	v_mul_f32_e32 v1, 0x4f7ffffe, v1
	v_cvt_u32_f32_e32 v1, v1
	v_mul_lo_u32 v5, s22, v1
	v_mul_hi_u32 v5, v1, v5
	v_add_u32_e32 v1, v1, v5
	v_mul_hi_u32 v1, v6, v1
	v_mul_lo_u32 v5, v1, s20
	v_sub_u32_e32 v5, v6, v5
	v_add_u32_e32 v8, 1, v1
	v_subrev_u32_e32 v9, s20, v5
	v_cmp_le_u32_e32 vcc, s20, v5
	s_nop 1
	v_cndmask_b32_e32 v5, v5, v9, vcc
	v_cndmask_b32_e32 v1, v1, v8, vcc
	v_add_u32_e32 v8, 1, v1
	v_cmp_le_u32_e32 vcc, s20, v5
	v_mov_b32_e32 v9, v4
	s_nop 0
	v_cndmask_b32_e32 v8, v1, v8, vcc
.LBB0_6:                                ;   in Loop: Header=BB0_2 Depth=1
	s_or_b64 exec, exec, s[2:3]
	v_mad_u64_u32 v[10:11], s[2:3], v8, s20, 0
	s_load_dwordx2 s[2:3], s[14:15], 0x0
	v_mul_lo_u32 v1, v9, s20
	v_mul_lo_u32 v5, v8, s21
	v_add3_u32 v1, v11, v5, v1
	v_sub_co_u32_e32 v5, vcc, v6, v10
	s_add_u32 s16, s16, 1
	s_nop 0
	v_subb_co_u32_e32 v1, vcc, v7, v1, vcc
	s_addc_u32 s17, s17, 0
	s_waitcnt lgkmcnt(0)
	v_mul_lo_u32 v1, s2, v1
	v_mul_lo_u32 v6, s3, v5
	v_mad_u64_u32 v[2:3], s[2:3], s2, v5, v[2:3]
	s_add_u32 s14, s14, 8
	v_add3_u32 v3, v6, v3, v1
	s_addc_u32 s15, s15, 0
	v_mov_b64_e32 v[6:7], s[6:7]
	s_add_u32 s18, s18, 8
	v_cmp_ge_u64_e32 vcc, s[16:17], v[6:7]
	s_addc_u32 s19, s19, 0
	s_cbranch_vccnz .LBB0_9
; %bb.7:                                ;   in Loop: Header=BB0_2 Depth=1
	v_mov_b64_e32 v[6:7], v[8:9]
	s_branch .LBB0_2
.LBB0_8:
	v_mov_b64_e32 v[8:9], v[6:7]
.LBB0_9:
	s_lshl_b64 s[2:3], s[6:7], 3
	s_add_u32 s2, s12, s2
	s_addc_u32 s3, s13, s3
	s_load_dwordx2 s[6:7], s[2:3], 0x0
	s_load_dwordx2 s[12:13], s[0:1], 0x20
	s_mov_b32 s2, 0x2302303
                                        ; implicit-def: $vgpr77
                                        ; implicit-def: $vgpr65
                                        ; implicit-def: $vgpr61
                                        ; implicit-def: $vgpr154
	s_waitcnt lgkmcnt(0)
	v_mul_lo_u32 v1, s6, v9
	v_mul_lo_u32 v4, s7, v8
	v_mad_u64_u32 v[2:3], s[0:1], s6, v8, v[2:3]
	v_add3_u32 v3, v4, v3, v1
	v_mul_hi_u32 v1, v0, s2
	v_mul_u32_u24_e32 v1, 0x75, v1
	v_cmp_gt_u64_e32 vcc, s[12:13], v[8:9]
	v_cmp_le_u64_e64 s[0:1], s[12:13], v[8:9]
	v_sub_u32_e32 v55, v0, v1
                                        ; implicit-def: $sgpr2_sgpr3
	s_and_saveexec_b64 s[6:7], s[0:1]
	s_xor_b64 s[0:1], exec, s[6:7]
; %bb.10:
	v_add_u32_e32 v77, 0x75, v55
	v_add_u32_e32 v65, 0xea, v55
	;; [unrolled: 1-line block ×4, first 2 shown]
	s_mov_b64 s[2:3], 0
; %bb.11:
	s_or_saveexec_b64 s[0:1], s[0:1]
	v_mov_b64_e32 v[0:1], s[2:3]
	v_lshl_add_u64 v[24:25], v[2:3], 3, s[10:11]
	v_mov_b64_e32 v[4:5], s[2:3]
	v_mov_b64_e32 v[8:9], s[2:3]
	;; [unrolled: 1-line block ×4, first 2 shown]
                                        ; implicit-def: $vgpr18
                                        ; implicit-def: $vgpr14
                                        ; implicit-def: $vgpr10
                                        ; implicit-def: $vgpr6
                                        ; implicit-def: $vgpr2
	s_xor_b64 exec, exec, s[0:1]
	s_cbranch_execz .LBB0_13
; %bb.12:
	v_mad_u64_u32 v[0:1], s[2:3], s8, v55, 0
	v_mov_b32_e32 v2, v1
	v_mad_u64_u32 v[2:3], s[2:3], s9, v55, v[2:3]
	v_mov_b32_e32 v1, v2
	v_add_u32_e32 v3, 0x249, v55
	v_lshl_add_u64 v[8:9], v[0:1], 3, v[24:25]
	v_mad_u64_u32 v[0:1], s[2:3], s8, v3, 0
	v_mov_b32_e32 v2, v1
	v_mad_u64_u32 v[2:3], s[2:3], s9, v3, v[2:3]
	v_mov_b32_e32 v1, v2
	v_add_u32_e32 v77, 0x75, v55
	v_lshl_add_u64 v[10:11], v[0:1], 3, v[24:25]
	v_mad_u64_u32 v[0:1], s[2:3], s8, v77, 0
	v_mov_b32_e32 v2, v1
	v_mad_u64_u32 v[2:3], s[2:3], s9, v77, v[2:3]
	v_mov_b32_e32 v1, v2
	v_add_u32_e32 v3, 0x2be, v55
	v_lshl_add_u64 v[12:13], v[0:1], 3, v[24:25]
	v_mad_u64_u32 v[0:1], s[2:3], s8, v3, 0
	v_mov_b32_e32 v2, v1
	v_mad_u64_u32 v[2:3], s[2:3], s9, v3, v[2:3]
	v_mov_b32_e32 v1, v2
	v_add_u32_e32 v65, 0xea, v55
	v_lshl_add_u64 v[14:15], v[0:1], 3, v[24:25]
	global_load_dwordx2 v[0:1], v[8:9], off
	global_load_dwordx2 v[2:3], v[10:11], off
	;; [unrolled: 1-line block ×4, first 2 shown]
	v_mad_u64_u32 v[8:9], s[2:3], s8, v65, 0
	v_mov_b32_e32 v10, v9
	v_mad_u64_u32 v[10:11], s[2:3], s9, v65, v[10:11]
	v_mov_b32_e32 v9, v10
	v_add_u32_e32 v11, 0x333, v55
	v_lshl_add_u64 v[16:17], v[8:9], 3, v[24:25]
	v_mad_u64_u32 v[8:9], s[2:3], s8, v11, 0
	v_mov_b32_e32 v10, v9
	v_mad_u64_u32 v[10:11], s[2:3], s9, v11, v[10:11]
	v_mov_b32_e32 v9, v10
	v_add_u32_e32 v61, 0x15f, v55
	v_lshl_add_u64 v[18:19], v[8:9], 3, v[24:25]
	;; [unrolled: 6-line block ×4, first 2 shown]
	global_load_dwordx2 v[8:9], v[16:17], off
	global_load_dwordx2 v[10:11], v[18:19], off
	;; [unrolled: 1-line block ×4, first 2 shown]
	v_mad_u64_u32 v[16:17], s[2:3], s8, v154, 0
	v_mov_b32_e32 v18, v17
	v_mad_u64_u32 v[18:19], s[2:3], s9, v154, v[18:19]
	v_mov_b32_e32 v17, v18
	v_add_u32_e32 v19, 0x41d, v55
	v_lshl_add_u64 v[20:21], v[16:17], 3, v[24:25]
	v_mad_u64_u32 v[16:17], s[2:3], s8, v19, 0
	v_mov_b32_e32 v18, v17
	v_mad_u64_u32 v[18:19], s[2:3], s9, v19, v[18:19]
	v_mov_b32_e32 v17, v18
	v_lshl_add_u64 v[22:23], v[16:17], 3, v[24:25]
	global_load_dwordx2 v[16:17], v[20:21], off
	global_load_dwordx2 v[18:19], v[22:23], off
.LBB0_13:
	s_or_b64 exec, exec, s[0:1]
	s_waitcnt vmcnt(8)
	v_pk_add_f32 v[2:3], v[0:1], v[2:3] neg_lo:[0,1] neg_hi:[0,1]
	s_waitcnt vmcnt(6)
	v_pk_add_f32 v[6:7], v[4:5], v[6:7] neg_lo:[0,1] neg_hi:[0,1]
	v_lshl_add_u32 v20, v55, 4, 0
	v_pk_fma_f32 v[0:1], v[0:1], 2.0, v[2:3] op_sel_hi:[1,0,1] neg_lo:[0,0,1] neg_hi:[0,0,1]
	v_lshl_add_u32 v21, v77, 4, 0
	v_pk_fma_f32 v[4:5], v[4:5], 2.0, v[6:7] op_sel_hi:[1,0,1] neg_lo:[0,0,1] neg_hi:[0,0,1]
	s_waitcnt vmcnt(4)
	v_pk_add_f32 v[10:11], v[8:9], v[10:11] neg_lo:[0,1] neg_hi:[0,1]
	ds_write2_b64 v20, v[0:1], v[2:3] offset1:1
	ds_write2_b64 v21, v[4:5], v[6:7] offset1:1
	v_lshl_add_u32 v21, v65, 4, 0
	v_pk_fma_f32 v[8:9], v[8:9], 2.0, v[10:11] op_sel_hi:[1,0,1] neg_lo:[0,0,1] neg_hi:[0,0,1]
	s_waitcnt vmcnt(2)
	v_pk_add_f32 v[14:15], v[12:13], v[14:15] neg_lo:[0,1] neg_hi:[0,1]
	ds_write2_b64 v21, v[8:9], v[10:11] offset1:1
	v_lshl_add_u32 v21, v61, 4, 0
	v_pk_fma_f32 v[12:13], v[12:13], 2.0, v[14:15] op_sel_hi:[1,0,1] neg_lo:[0,0,1] neg_hi:[0,0,1]
	s_waitcnt vmcnt(0)
	v_pk_add_f32 v[18:19], v[16:17], v[18:19] neg_lo:[0,1] neg_hi:[0,1]
	s_movk_i32 s0, 0x5a
	ds_write2_b64 v21, v[12:13], v[14:15] offset1:1
	v_lshl_add_u32 v21, v154, 4, 0
	v_pk_fma_f32 v[16:17], v[16:17], 2.0, v[18:19] op_sel_hi:[1,0,1] neg_lo:[0,0,1] neg_hi:[0,0,1]
	v_cmp_gt_u32_e64 s[0:1], s0, v55
	ds_write2_b64 v21, v[16:17], v[18:19] offset1:1
	s_waitcnt lgkmcnt(0)
	s_barrier
	s_waitcnt lgkmcnt(0)
                                        ; implicit-def: $vgpr28
                                        ; implicit-def: $vgpr26
                                        ; implicit-def: $vgpr30
                                        ; implicit-def: $vgpr22
                                        ; implicit-def: $vgpr32
	s_and_saveexec_b64 s[2:3], s[0:1]
	s_cbranch_execz .LBB0_15
; %bb.14:
	v_lshlrev_b32_e32 v0, 3, v55
	v_sub_u32_e32 v16, v20, v0
	v_add_u32_e32 v4, 0x400, v16
	v_add_u32_e32 v8, 0x800, v16
	;; [unrolled: 1-line block ×3, first 2 shown]
	ds_read2_b64 v[0:3], v16 offset1:90
	ds_read2_b64 v[4:7], v4 offset0:52 offset1:142
	ds_read2_b64 v[8:11], v8 offset0:104 offset1:194
	;; [unrolled: 1-line block ×3, first 2 shown]
	v_add_u32_e32 v17, 0x1800, v16
	ds_read_b64 v[26:27], v16 offset:8640
	ds_read2_b64 v[20:23], v17 offset0:132 offset1:222
	v_add_u32_e32 v16, 0x1400, v16
	ds_read2_b64 v[16:19], v16 offset0:80 offset1:170
	s_waitcnt lgkmcnt(2)
	v_mov_b32_e32 v28, v27
	s_waitcnt lgkmcnt(1)
	v_mov_b32_e32 v30, v23
	v_mov_b32_e32 v32, v21
.LBB0_15:
	s_or_b64 exec, exec, s[2:3]
	v_and_b32_e32 v155, 1, v55
	v_mul_u32_u24_e32 v21, 12, v155
	v_lshlrev_b32_e32 v21, 3, v21
	global_load_dwordx4 v[56:59], v21, s[4:5] offset:16
	global_load_dwordx4 v[42:45], v21, s[4:5] offset:32
	;; [unrolled: 1-line block ×5, first 2 shown]
	global_load_dwordx4 v[84:87], v21, s[4:5]
	v_mov_b32_e32 v34, v11
	v_mov_b32_e32 v36, v13
	;; [unrolled: 1-line block ×3, first 2 shown]
	s_waitcnt lgkmcnt(0)
	v_mov_b32_e32 v54, v17
	v_mov_b32_e32 v60, v19
	v_mov_b32_e32 v40, v9
	s_mov_b32 s24, 0xbf52af12
	s_mov_b32 s25, 0x3f116cb1
	;; [unrolled: 1-line block ×40, first 2 shown]
	s_barrier
	s_waitcnt vmcnt(5)
	v_mov_b32_e32 v62, v59
	v_mov_b32_e32 v63, v58
	v_pk_mul_f32 v[8:9], v[8:9], v[58:59] op_sel_hi:[0,1]
	s_waitcnt vmcnt(4)
	v_pk_mul_f32 v[66:67], v[34:35], v[42:43] op_sel_hi:[0,1]
	v_pk_mul_f32 v[68:69], v[36:37], v[44:45] op_sel_hi:[0,1]
	s_waitcnt vmcnt(3)
	v_pk_mul_f32 v[70:71], v[38:39], v[46:47] op_sel_hi:[0,1]
	;; [unrolled: 3-line block ×3, first 2 shown]
	v_pk_mul_f32 v[32:33], v[32:33], v[52:53] op_sel_hi:[0,1]
	v_mul_f32_e32 v34, v7, v57
	v_mul_f32_e32 v11, v6, v57
	s_waitcnt vmcnt(0)
	v_mul_f32_e32 v13, v4, v87
	v_mul_f32_e32 v54, v3, v85
	;; [unrolled: 1-line block ×3, first 2 shown]
	v_pk_mul_f32 v[28:29], v[28:29], v[82:83] op_sel_hi:[0,1]
	v_pk_mul_f32 v[30:31], v[30:31], v[80:81] op_sel_hi:[0,1]
	v_pk_fma_f32 v[38:39], v[40:41], v[62:63], v[8:9] op_sel_hi:[0,1,1]
	v_pk_fma_f32 v[58:59], v[40:41], v[62:63], v[8:9] op_sel_hi:[0,1,1] neg_lo:[0,0,1] neg_hi:[0,0,1]
	v_pk_fma_f32 v[40:41], v[10:11], v[42:43], v[66:67] op_sel:[0,0,1] op_sel_hi:[0,1,0]
	v_pk_fma_f32 v[62:63], v[10:11], v[42:43], v[66:67] op_sel:[0,0,1] op_sel_hi:[0,1,0] neg_lo:[1,0,0] neg_hi:[1,0,0]
	v_pk_fma_f32 v[42:43], v[12:13], v[44:45], v[68:69] op_sel:[0,0,1] op_sel_hi:[0,1,0]
	v_pk_fma_f32 v[68:69], v[12:13], v[44:45], v[68:69] op_sel:[0,0,1] op_sel_hi:[0,1,0] neg_lo:[1,0,0] neg_hi:[1,0,0]
	;; [unrolled: 2-line block ×5, first 2 shown]
	v_pk_fma_f32 v[50:51], v[20:21], v[52:53], v[32:33] op_sel:[0,0,1] op_sel_hi:[0,1,0]
	v_fmac_f32_e32 v34, v6, v56
	v_fmac_f32_e32 v54, v2, v84
	v_fma_f32 v76, v3, v84, -v15
	v_pk_fma_f32 v[84:85], v[26:27], v[82:83], v[28:29] op_sel:[0,0,1] op_sel_hi:[0,1,0] neg_lo:[1,0,0] neg_hi:[1,0,0]
	v_mul_f32_e32 v36, v5, v87
	v_pk_fma_f32 v[66:67], v[20:21], v[52:53], v[32:33] op_sel:[0,0,1] op_sel_hi:[0,1,0] neg_lo:[1,0,0] neg_hi:[1,0,0]
	v_pk_fma_f32 v[52:53], v[22:23], v[80:81], v[30:31] op_sel:[0,0,1] op_sel_hi:[0,1,0]
	v_pk_fma_f32 v[80:81], v[22:23], v[80:81], v[30:31] op_sel:[0,0,1] op_sel_hi:[0,1,0] neg_lo:[1,0,0] neg_hi:[1,0,0]
	v_fma_f32 v60, v7, v56, -v11
	v_fma_f32 v64, v5, v86, -v13
	v_pk_fma_f32 v[56:57], v[26:27], v[82:83], v[28:29] op_sel:[0,0,1] op_sel_hi:[0,1,0]
	v_pk_add_f32 v[2:3], v[34:35], v[50:51]
	v_pk_add_f32 v[12:13], v[34:35], v[50:51] neg_lo:[0,1] neg_hi:[0,1]
	v_pk_add_f32 v[6:7], v[40:41], v[46:47]
	v_pk_add_f32 v[32:33], v[40:41], v[46:47] neg_lo:[0,1] neg_hi:[0,1]
	v_pk_add_f32 v[90:91], v[76:77], v[84:85] op_sel_hi:[0,1]
	v_pk_add_f32 v[30:31], v[76:77], v[84:85] op_sel:[0,1] neg_lo:[0,1] neg_hi:[0,1]
	v_fmac_f32_e32 v36, v4, v86
	v_pk_add_f32 v[22:23], v[58:59], v[70:71] neg_lo:[0,1] neg_hi:[0,1]
	v_pk_add_f32 v[20:21], v[58:59], v[70:71]
	v_pk_add_f32 v[88:89], v[54:55], v[56:57] neg_lo:[0,1] neg_hi:[0,1]
	v_pk_add_f32 v[10:11], v[54:55], v[56:57]
	v_mov_b32_e32 v3, v12
	v_mov_b32_e32 v7, v32
	;; [unrolled: 1-line block ×3, first 2 shown]
	v_pk_add_f32 v[12:13], v[64:65], v[80:81] op_sel_hi:[0,1]
	v_pk_add_f32 v[32:33], v[64:65], v[80:81] op_sel:[0,1] neg_lo:[0,1] neg_hi:[0,1]
	v_pk_add_f32 v[92:93], v[36:37], v[52:53] neg_lo:[0,1] neg_hi:[0,1]
	v_mov_b32_e32 v20, v23
	v_mov_b32_e32 v11, v88
	v_pk_add_f32 v[22:23], v[36:37], v[52:53]
	v_mov_b32_e32 v33, v13
	v_pk_mul_f32 v[100:101], v[30:31], s[24:25]
	v_pk_add_f32 v[18:19], v[60:61], v[66:67] op_sel:[0,1] neg_lo:[0,1] neg_hi:[0,1]
	v_pk_add_f32 v[14:15], v[60:61], v[66:67] op_sel_hi:[0,1]
	v_mov_b32_e32 v23, v92
	v_pk_fma_f32 v[98:99], v[10:11], s[2:3], v[100:101]
	v_pk_fma_f32 v[12:13], v[10:11], s[2:3], v[100:101] neg_lo:[0,0,1] neg_hi:[0,0,1]
	v_pk_mul_f32 v[108:109], v[32:33], s[16:17]
	v_pk_add_f32 v[8:9], v[42:43], v[44:45]
	v_pk_add_f32 v[82:83], v[42:43], v[44:45] neg_lo:[0,1] neg_hi:[0,1]
	v_mov_b32_e32 v19, v15
	v_mov_b32_e32 v13, v99
	v_pk_fma_f32 v[106:107], v[22:23], s[6:7], v[108:109]
	v_pk_fma_f32 v[14:15], v[22:23], s[6:7], v[108:109] neg_lo:[0,0,1] neg_hi:[0,0,1]
	v_pk_add_f32 v[78:79], v[62:63], v[72:73] neg_lo:[0,1] neg_hi:[0,1]
	v_pk_add_f32 v[26:27], v[62:63], v[72:73]
	v_mov_b32_e32 v9, v82
	v_pk_add_f32 v[12:13], v[0:1], v[12:13]
	v_mov_b32_e32 v15, v107
	v_pk_mul_f32 v[82:83], v[30:31], s[16:17]
	v_pk_add_f32 v[4:5], v[38:39], v[48:49]
	v_pk_add_f32 v[16:17], v[38:39], v[48:49] neg_lo:[0,1] neg_hi:[0,1]
	v_pk_add_f32 v[86:87], v[68:69], v[74:75] neg_lo:[0,1] neg_hi:[0,1]
	v_pk_add_f32 v[28:29], v[68:69], v[74:75]
	v_mov_b32_e32 v26, v79
	v_pk_add_f32 v[12:13], v[14:15], v[12:13]
	v_pk_fma_f32 v[14:15], v[10:11], s[6:7], v[82:83] neg_lo:[0,0,1] neg_hi:[0,0,1]
	v_pk_fma_f32 v[78:79], v[10:11], s[6:7], v[82:83]
	v_pk_mul_f32 v[88:89], v[32:33], s[22:23]
	v_mov_b32_e32 v5, v16
	v_mov_b32_e32 v28, v87
	;; [unrolled: 1-line block ×3, first 2 shown]
	v_pk_fma_f32 v[16:17], v[22:23], s[42:43], v[88:89] neg_lo:[0,0,1] neg_hi:[0,0,1]
	v_pk_fma_f32 v[86:87], v[22:23], s[42:43], v[88:89]
	v_pk_add_f32 v[14:15], v[0:1], v[14:15]
	v_mov_b32_e32 v17, v87
	v_pk_mul_f32 v[112:113], v[18:19], s[26:27]
	v_pk_add_f32 v[14:15], v[16:17], v[14:15]
	v_pk_fma_f32 v[110:111], v[2:3], s[10:11], v[112:113]
	v_pk_fma_f32 v[16:17], v[2:3], s[10:11], v[112:113] neg_lo:[0,0,1] neg_hi:[0,0,1]
	v_pk_mul_f32 v[92:93], v[18:19], s[30:31]
	v_mov_b32_e32 v17, v111
	v_pk_add_f32 v[12:13], v[16:17], v[12:13]
	v_pk_fma_f32 v[16:17], v[2:3], s[14:15], v[92:93] neg_lo:[0,0,1] neg_hi:[0,0,1]
	v_pk_fma_f32 v[90:91], v[2:3], s[14:15], v[92:93]
	v_pk_mul_f32 v[116:117], v[20:21], s[22:23]
	v_mov_b32_e32 v17, v91
	v_pk_add_f32 v[14:15], v[16:17], v[14:15]
	v_pk_fma_f32 v[114:115], v[4:5], s[42:43], v[116:117]
	v_pk_fma_f32 v[16:17], v[4:5], s[42:43], v[116:117] neg_lo:[0,0,1] neg_hi:[0,0,1]
	v_pk_mul_f32 v[96:97], v[20:21], s[46:47]
	v_mov_b32_e32 v17, v115
	v_pk_add_f32 v[12:13], v[16:17], v[12:13]
	v_pk_fma_f32 v[16:17], v[4:5], s[12:13], v[96:97] neg_lo:[0,0,1] neg_hi:[0,0,1]
	v_pk_fma_f32 v[94:95], v[4:5], s[12:13], v[96:97]
	v_pk_mul_f32 v[120:121], v[26:27], s[28:29]
	v_mov_b32_e32 v17, v95
	v_pk_add_f32 v[14:15], v[16:17], v[14:15]
	v_pk_fma_f32 v[118:119], v[6:7], s[20:21], v[120:121]
	v_pk_fma_f32 v[16:17], v[6:7], s[20:21], v[120:121] neg_lo:[0,0,1] neg_hi:[0,0,1]
	v_pk_mul_f32 v[104:105], v[26:27], s[38:39]
	v_mov_b32_e32 v17, v119
	v_pk_add_f32 v[12:13], v[16:17], v[12:13]
	v_pk_fma_f32 v[16:17], v[6:7], s[18:19], v[104:105] neg_lo:[0,0,1] neg_hi:[0,0,1]
	v_pk_fma_f32 v[102:103], v[6:7], s[18:19], v[104:105]
	v_pk_mul_f32 v[124:125], v[28:29], s[30:31]
	v_mov_b32_e32 v17, v103
	v_pk_add_f32 v[16:17], v[16:17], v[14:15]
	v_pk_fma_f32 v[122:123], v[8:9], s[14:15], v[124:125]
	v_pk_fma_f32 v[14:15], v[8:9], s[14:15], v[124:125] neg_lo:[0,0,1] neg_hi:[0,0,1]
	v_pk_mul_f32 v[134:135], v[30:31], s[46:47]
	v_mov_b32_e32 v15, v123
	v_pk_add_f32 v[12:13], v[14:15], v[12:13]
	v_pk_fma_f32 v[14:15], v[10:11], s[12:13], v[134:135] neg_lo:[0,0,1] neg_hi:[0,0,1]
	v_pk_fma_f32 v[126:127], v[10:11], s[12:13], v[134:135]
	v_pk_mul_f32 v[136:137], v[32:33], s[26:27]
	v_mov_b32_e32 v15, v127
	v_pk_fma_f32 v[130:131], v[22:23], s[10:11], v[136:137] neg_lo:[0,0,1] neg_hi:[0,0,1]
	v_pk_fma_f32 v[128:129], v[22:23], s[10:11], v[136:137]
	v_pk_add_f32 v[14:15], v[0:1], v[14:15]
	v_mov_b32_e32 v131, v129
	v_pk_mul_f32 v[140:141], v[18:19], s[34:35]
	v_pk_add_f32 v[14:15], v[130:131], v[14:15]
	v_pk_fma_f32 v[130:131], v[2:3], s[48:49], v[140:141] neg_lo:[0,0,1] neg_hi:[0,0,1]
	v_pk_fma_f32 v[138:139], v[2:3], s[48:49], v[140:141]
	v_pk_mul_f32 v[144:145], v[20:21], s[30:31]
	v_mov_b32_e32 v131, v139
	v_pk_add_f32 v[14:15], v[130:131], v[14:15]
	v_pk_fma_f32 v[130:131], v[4:5], s[14:15], v[144:145] neg_lo:[0,0,1] neg_hi:[0,0,1]
	v_pk_fma_f32 v[142:143], v[4:5], s[14:15], v[144:145]
	v_pk_mul_f32 v[148:149], v[26:27], s[24:25]
	v_mov_b32_e32 v131, v143
	v_pk_add_f32 v[14:15], v[130:131], v[14:15]
	v_pk_fma_f32 v[130:131], v[6:7], s[2:3], v[148:149] neg_lo:[0,0,1] neg_hi:[0,0,1]
	v_pk_fma_f32 v[146:147], v[6:7], s[2:3], v[148:149]
	s_mov_b32 s22, 0xbf29c268
	v_mov_b32_e32 v131, v147
	s_mov_b32 s34, s23
	s_mov_b32 s35, s22
	v_pk_mul_f32 v[152:153], v[28:29], s[22:23]
	v_pk_add_f32 v[14:15], v[130:131], v[14:15]
	v_pk_fma_f32 v[130:131], v[8:9], s[34:35], v[152:153] neg_lo:[0,0,1] neg_hi:[0,0,1]
	v_pk_fma_f32 v[150:151], v[8:9], s[34:35], v[152:153]
	v_pk_mul_f32 v[132:133], v[28:29], s[44:45]
	v_mov_b32_e32 v131, v151
	v_pk_add_f32 v[14:15], v[130:131], v[14:15]
	v_pk_fma_f32 v[156:157], v[8:9], s[40:41], v[132:133] neg_lo:[0,0,1] neg_hi:[0,0,1]
	v_pk_fma_f32 v[130:131], v[8:9], s[40:41], v[132:133]
	s_nop 0
	v_mov_b32_e32 v157, v131
	v_pk_add_f32 v[16:17], v[156:157], v[16:17]
	s_and_saveexec_b64 s[36:37], s[0:1]
	s_cbranch_execz .LBB0_17
; %bb.16:
	v_mov_b32_e32 v39, v59
	v_add_f32_e32 v59, v1, v76
	v_add_f32_e32 v58, v0, v54
	v_mov_b32_e32 v37, v64
	v_pk_add_f32 v[36:37], v[58:59], v[36:37]
	v_mov_b32_e32 v35, v60
	v_pk_add_f32 v[34:35], v[36:37], v[34:35]
	;; [unrolled: 2-line block ×8, first 2 shown]
	s_mov_b32 s1, 0xbeedf032
	v_mov_b32_e32 v53, v81
	v_pk_add_f32 v[34:35], v[34:35], v[50:51]
	s_mov_b32 s50, s1
	s_mov_b32 s51, s31
	v_mov_b32_e32 v57, v85
	v_pk_add_f32 v[34:35], v[34:35], v[52:53]
	s_mov_b32 s0, s31
	v_pk_mul_f32 v[36:37], v[30:31], s[50:51]
	v_pk_add_f32 v[40:41], v[34:35], v[56:57]
	v_pk_fma_f32 v[34:35], v[10:11], s[0:1], v[36:37]
	v_pk_fma_f32 v[38:39], v[10:11], s[0:1], v[36:37] neg_lo:[1,0,0] neg_hi:[1,0,0]
	v_pk_mul_f32 v[44:45], v[32:33], s[24:25]
	v_mov_b32_e32 v38, v34
	v_pk_add_f32 v[42:43], v[0:1], v[38:39]
	v_pk_fma_f32 v[38:39], v[22:23], s[2:3], v[44:45]
	v_pk_fma_f32 v[46:47], v[22:23], s[2:3], v[44:45] neg_lo:[1,0,0] neg_hi:[1,0,0]
	v_lshrrev_b32_e32 v34, 1, v55
	v_mov_b32_e32 v46, v38
	v_pk_add_f32 v[42:43], v[46:47], v[42:43]
	v_pk_mul_f32 v[46:47], v[18:19], s[46:47]
	v_mul_u32_u24_e32 v34, 26, v34
	v_pk_fma_f32 v[48:49], v[2:3], s[12:13], v[46:47]
	v_pk_fma_f32 v[50:51], v[2:3], s[12:13], v[46:47] neg_lo:[1,0,0] neg_hi:[1,0,0]
	v_or_b32_e32 v34, v34, v155
	v_mov_b32_e32 v50, v48
	v_pk_add_f32 v[42:43], v[50:51], v[42:43]
	v_pk_mul_f32 v[50:51], v[20:21], s[16:17]
	v_lshl_add_u32 v34, v34, 3, 0
	v_pk_fma_f32 v[52:53], v[4:5], s[6:7], v[50:51]
	v_pk_fma_f32 v[56:57], v[4:5], s[6:7], v[50:51] neg_lo:[1,0,0] neg_hi:[1,0,0]
	v_pk_mul_f32 v[84:85], v[10:11], s[12:13]
	v_mov_b32_e32 v56, v52
	v_pk_add_f32 v[42:43], v[56:57], v[42:43]
	v_pk_mul_f32 v[56:57], v[26:27], s[22:23]
	v_pk_mul_f32 v[74:75], v[8:9], s[14:15]
	v_pk_fma_f32 v[58:59], v[6:7], s[34:35], v[56:57]
	v_pk_fma_f32 v[62:63], v[6:7], s[34:35], v[56:57] neg_lo:[1,0,0] neg_hi:[1,0,0]
	v_pk_add_f32 v[84:85], v[134:135], v[84:85] neg_lo:[0,1] neg_hi:[0,1]
	v_mov_b32_e32 v62, v58
	v_pk_add_f32 v[42:43], v[62:63], v[42:43]
	v_pk_mul_f32 v[62:63], v[28:29], s[26:27]
	v_pk_add_f32 v[74:75], v[124:125], v[74:75] neg_lo:[0,1] neg_hi:[0,1]
	v_pk_fma_f32 v[66:67], v[8:9], s[10:11], v[62:63]
	v_pk_fma_f32 v[68:69], v[8:9], s[10:11], v[62:63] neg_lo:[1,0,0] neg_hi:[1,0,0]
	v_mov_b32_e32 v127, v85
	v_mov_b32_e32 v68, v66
	v_pk_add_f32 v[42:43], v[68:69], v[42:43]
	ds_write2_b64 v34, v[40:41], v[42:43] offset1:2
	v_pk_mul_f32 v[40:41], v[10:11], s[2:3]
	v_pk_mul_f32 v[42:43], v[2:3], s[10:11]
	v_pk_add_f32 v[40:41], v[100:101], v[40:41] neg_lo:[0,1] neg_hi:[0,1]
	v_pk_mul_f32 v[84:85], v[22:23], s[10:11]
	v_mov_b32_e32 v99, v41
	v_pk_mul_f32 v[40:41], v[22:23], s[6:7]
	v_pk_add_f32 v[42:43], v[112:113], v[42:43] neg_lo:[0,1] neg_hi:[0,1]
	v_pk_add_f32 v[40:41], v[108:109], v[40:41] neg_lo:[0,1] neg_hi:[0,1]
	v_mov_b32_e32 v123, v75
	v_mov_b32_e32 v107, v41
	v_pk_add_f32 v[40:41], v[0:1], v[98:99]
	v_pk_mul_f32 v[74:75], v[2:3], s[48:49]
	v_pk_add_f32 v[84:85], v[136:137], v[84:85] neg_lo:[0,1] neg_hi:[0,1]
	v_pk_add_f32 v[40:41], v[106:107], v[40:41]
	v_mov_b32_e32 v111, v43
	v_pk_mul_f32 v[42:43], v[4:5], s[42:43]
	v_pk_mul_f32 v[98:99], v[4:5], s[14:15]
	v_mov_b32_e32 v129, v85
	v_pk_add_f32 v[106:107], v[0:1], v[126:127]
	v_pk_add_f32 v[74:75], v[140:141], v[74:75] neg_lo:[0,1] neg_hi:[0,1]
	v_pk_add_f32 v[42:43], v[116:117], v[42:43] neg_lo:[0,1] neg_hi:[0,1]
	v_pk_mul_f32 v[70:71], v[6:7], s[20:21]
	v_pk_mul_f32 v[100:101], v[6:7], s[2:3]
	v_pk_add_f32 v[106:107], v[128:129], v[106:107]
	v_mov_b32_e32 v139, v75
	v_pk_add_f32 v[98:99], v[144:145], v[98:99] neg_lo:[0,1] neg_hi:[0,1]
	v_pk_add_f32 v[40:41], v[110:111], v[40:41]
	v_mov_b32_e32 v115, v43
	v_pk_add_f32 v[70:71], v[120:121], v[70:71] neg_lo:[0,1] neg_hi:[0,1]
	v_pk_mul_f32 v[84:85], v[8:9], s[34:35]
	v_pk_add_f32 v[74:75], v[138:139], v[106:107]
	v_mov_b32_e32 v143, v99
	v_pk_add_f32 v[98:99], v[148:149], v[100:101] neg_lo:[0,1] neg_hi:[0,1]
	v_pk_mul_f32 v[42:43], v[4:5], s[12:13]
	v_pk_add_f32 v[40:41], v[114:115], v[40:41]
	v_mov_b32_e32 v119, v71
	v_pk_add_f32 v[74:75], v[142:143], v[74:75]
	v_mov_b32_e32 v147, v99
	v_pk_add_f32 v[84:85], v[152:153], v[84:85] neg_lo:[0,1] neg_hi:[0,1]
	v_pk_mul_f32 v[72:73], v[6:7], s[18:19]
	v_pk_add_f32 v[40:41], v[118:119], v[40:41]
	v_pk_add_f32 v[74:75], v[146:147], v[74:75]
	v_mov_b32_e32 v151, v85
	v_pk_add_f32 v[42:43], v[96:97], v[42:43] neg_lo:[0,1] neg_hi:[0,1]
	v_pk_mul_f32 v[70:71], v[10:11], s[6:7]
	v_pk_add_f32 v[40:41], v[122:123], v[40:41]
	v_pk_mul_f32 v[108:109], v[8:9], s[40:41]
	v_pk_add_f32 v[74:75], v[150:151], v[74:75]
	v_mov_b32_e32 v95, v43
	v_pk_add_f32 v[42:43], v[104:105], v[72:73] neg_lo:[0,1] neg_hi:[0,1]
	v_pk_mul_f32 v[68:69], v[2:3], s[14:15]
	v_pk_mul_f32 v[80:81], v[22:23], s[42:43]
	ds_write2_b64 v34, v[40:41], v[74:75] offset0:4 offset1:6
	v_pk_add_f32 v[40:41], v[82:83], v[70:71] neg_lo:[0,1] neg_hi:[0,1]
	v_mov_b32_e32 v103, v43
	v_pk_add_f32 v[42:43], v[132:133], v[108:109] neg_lo:[0,1] neg_hi:[0,1]
	v_mov_b32_e32 v79, v41
	v_pk_add_f32 v[70:71], v[88:89], v[80:81] neg_lo:[0,1] neg_hi:[0,1]
	v_pk_add_f32 v[68:69], v[92:93], v[68:69] neg_lo:[0,1] neg_hi:[0,1]
	v_mov_b32_e32 v131, v43
	v_pk_mul_f32 v[42:43], v[30:31], s[22:23]
	v_pk_add_f32 v[40:41], v[0:1], v[78:79]
	v_mov_b32_e32 v87, v71
	v_mov_b32_e32 v91, v69
	v_pk_mul_f32 v[68:69], v[32:33], s[28:29]
	v_pk_fma_f32 v[80:81], v[10:11], s[34:35], v[42:43]
	v_pk_fma_f32 v[82:83], v[10:11], s[34:35], v[42:43] neg_lo:[1,0,0] neg_hi:[1,0,0]
	v_pk_add_f32 v[40:41], v[86:87], v[40:41]
	v_mov_b32_e32 v82, v80
	v_pk_fma_f32 v[84:85], v[22:23], s[20:21], v[68:69]
	v_pk_fma_f32 v[86:87], v[22:23], s[20:21], v[68:69] neg_lo:[1,0,0] neg_hi:[1,0,0]
	v_pk_mul_f32 v[70:71], v[18:19], s[24:25]
	v_pk_add_f32 v[82:83], v[0:1], v[82:83]
	v_mov_b32_e32 v86, v84
	v_pk_add_f32 v[82:83], v[86:87], v[82:83]
	v_pk_fma_f32 v[86:87], v[2:3], s[2:3], v[70:71]
	v_pk_fma_f32 v[88:89], v[2:3], s[2:3], v[70:71] neg_lo:[1,0,0] neg_hi:[1,0,0]
	v_pk_mul_f32 v[72:73], v[20:21], s[38:39]
	v_mov_b32_e32 v88, v86
	v_pk_add_f32 v[40:41], v[90:91], v[40:41]
	v_pk_add_f32 v[82:83], v[88:89], v[82:83]
	v_pk_fma_f32 v[88:89], v[4:5], s[18:19], v[72:73]
	v_pk_fma_f32 v[90:91], v[4:5], s[18:19], v[72:73] neg_lo:[1,0,0] neg_hi:[1,0,0]
	v_pk_mul_f32 v[74:75], v[26:27], s[30:31]
	v_mov_b32_e32 v90, v88
	v_pk_add_f32 v[82:83], v[90:91], v[82:83]
	v_pk_fma_f32 v[90:91], v[6:7], s[14:15], v[74:75]
	v_pk_fma_f32 v[92:93], v[6:7], s[14:15], v[74:75] neg_lo:[1,0,0] neg_hi:[1,0,0]
	v_pk_mul_f32 v[78:79], v[28:29], s[16:17]
	v_mov_b32_e32 v92, v90
	v_pk_add_f32 v[40:41], v[94:95], v[40:41]
	v_pk_add_f32 v[82:83], v[92:93], v[82:83]
	v_pk_fma_f32 v[92:93], v[8:9], s[6:7], v[78:79]
	v_pk_fma_f32 v[94:95], v[8:9], s[6:7], v[78:79] neg_lo:[1,0,0] neg_hi:[1,0,0]
	v_pk_add_f32 v[40:41], v[102:103], v[40:41]
	v_mov_b32_e32 v94, v92
	v_pk_add_f32 v[40:41], v[130:131], v[40:41]
	v_pk_add_f32 v[82:83], v[94:95], v[82:83]
	v_pk_mul_f32 v[30:31], v[30:31], s[26:27]
	ds_write2_b64 v34, v[40:41], v[82:83] offset0:8 offset1:10
	v_pk_fma_f32 v[40:41], v[10:11], s[10:11], v[30:31]
	v_pk_fma_f32 v[82:83], v[10:11], s[10:11], v[30:31] neg_lo:[1,0,0] neg_hi:[1,0,0]
	v_pk_mul_f32 v[32:33], v[32:33], s[30:31]
	v_mov_b32_e32 v82, v40
	v_pk_fma_f32 v[94:95], v[22:23], s[14:15], v[32:33]
	v_pk_fma_f32 v[96:97], v[22:23], s[14:15], v[32:33] neg_lo:[1,0,0] neg_hi:[1,0,0]
	v_pk_add_f32 v[82:83], v[0:1], v[82:83]
	v_mov_b32_e32 v96, v94
	v_pk_mul_f32 v[18:19], v[18:19], s[22:23]
	v_pk_fma_f32 v[30:31], v[10:11], s[10:11], v[30:31] neg_lo:[0,0,1] neg_hi:[0,0,1]
	v_pk_add_f32 v[82:83], v[96:97], v[82:83]
	v_pk_fma_f32 v[96:97], v[2:3], s[34:35], v[18:19]
	v_pk_fma_f32 v[98:99], v[2:3], s[34:35], v[18:19] neg_lo:[1,0,0] neg_hi:[1,0,0]
	v_mov_b32_e32 v31, v41
	v_pk_fma_f32 v[32:33], v[22:23], s[14:15], v[32:33] neg_lo:[0,0,1] neg_hi:[0,0,1]
	v_mov_b32_e32 v98, v96
	v_pk_mul_f32 v[20:21], v[20:21], s[44:45]
	v_pk_add_f32 v[30:31], v[0:1], v[30:31]
	v_mov_b32_e32 v33, v95
	v_pk_fma_f32 v[18:19], v[2:3], s[34:35], v[18:19] neg_lo:[0,0,1] neg_hi:[0,0,1]
	v_pk_add_f32 v[82:83], v[98:99], v[82:83]
	v_pk_fma_f32 v[98:99], v[4:5], s[40:41], v[20:21]
	v_pk_fma_f32 v[100:101], v[4:5], s[40:41], v[20:21] neg_lo:[1,0,0] neg_hi:[1,0,0]
	v_pk_add_f32 v[30:31], v[32:33], v[30:31]
	v_mov_b32_e32 v19, v97
	v_pk_fma_f32 v[20:21], v[4:5], s[40:41], v[20:21] neg_lo:[0,0,1] neg_hi:[0,0,1]
	v_mov_b32_e32 v100, v98
	v_pk_mul_f32 v[26:27], v[26:27], s[16:17]
	v_pk_add_f32 v[18:19], v[18:19], v[30:31]
	v_mov_b32_e32 v21, v99
	v_pk_add_f32 v[82:83], v[100:101], v[82:83]
	v_pk_fma_f32 v[100:101], v[6:7], s[6:7], v[26:27]
	v_pk_fma_f32 v[102:103], v[6:7], s[6:7], v[26:27] neg_lo:[1,0,0] neg_hi:[1,0,0]
	v_pk_add_f32 v[18:19], v[20:21], v[18:19]
	v_pk_fma_f32 v[20:21], v[6:7], s[6:7], v[26:27] neg_lo:[0,0,1] neg_hi:[0,0,1]
	v_mov_b32_e32 v102, v100
	v_pk_mul_f32 v[28:29], v[28:29], s[28:29]
	v_mov_b32_e32 v21, v101
	v_pk_add_f32 v[82:83], v[102:103], v[82:83]
	v_pk_fma_f32 v[102:103], v[8:9], s[20:21], v[28:29]
	v_pk_fma_f32 v[104:105], v[8:9], s[20:21], v[28:29] neg_lo:[1,0,0] neg_hi:[1,0,0]
	v_pk_add_f32 v[18:19], v[20:21], v[18:19]
	v_pk_fma_f32 v[20:21], v[8:9], s[20:21], v[28:29] neg_lo:[0,0,1] neg_hi:[0,0,1]
	v_mov_b32_e32 v104, v102
	v_mov_b32_e32 v21, v103
	v_pk_add_f32 v[82:83], v[104:105], v[82:83]
	v_pk_add_f32 v[18:19], v[20:21], v[18:19]
	ds_write2_b64 v34, v[82:83], v[18:19] offset0:12 offset1:14
	v_pk_fma_f32 v[18:19], v[10:11], s[34:35], v[42:43] neg_lo:[0,0,1] neg_hi:[0,0,1]
	v_pk_fma_f32 v[10:11], v[10:11], s[0:1], v[36:37] neg_lo:[0,0,1] neg_hi:[0,0,1]
	v_mov_b32_e32 v19, v81
	v_pk_fma_f32 v[20:21], v[22:23], s[20:21], v[68:69] neg_lo:[0,0,1] neg_hi:[0,0,1]
	v_mov_b32_e32 v11, v35
	v_pk_add_f32 v[18:19], v[0:1], v[18:19]
	v_mov_b32_e32 v21, v85
	v_pk_add_f32 v[0:1], v[0:1], v[10:11]
	v_pk_fma_f32 v[10:11], v[22:23], s[2:3], v[44:45] neg_lo:[0,0,1] neg_hi:[0,0,1]
	v_pk_add_f32 v[18:19], v[20:21], v[18:19]
	v_pk_fma_f32 v[20:21], v[2:3], s[2:3], v[70:71] neg_lo:[0,0,1] neg_hi:[0,0,1]
	v_mov_b32_e32 v11, v39
	v_pk_fma_f32 v[2:3], v[2:3], s[12:13], v[46:47] neg_lo:[0,0,1] neg_hi:[0,0,1]
	v_mov_b32_e32 v21, v87
	v_pk_add_f32 v[0:1], v[10:11], v[0:1]
	v_mov_b32_e32 v3, v49
	v_pk_add_f32 v[18:19], v[20:21], v[18:19]
	v_pk_fma_f32 v[20:21], v[4:5], s[18:19], v[72:73] neg_lo:[0,0,1] neg_hi:[0,0,1]
	v_pk_add_f32 v[0:1], v[2:3], v[0:1]
	v_pk_fma_f32 v[2:3], v[4:5], s[6:7], v[50:51] neg_lo:[0,0,1] neg_hi:[0,0,1]
	v_mov_b32_e32 v21, v89
	v_mov_b32_e32 v3, v53
	v_pk_add_f32 v[18:19], v[20:21], v[18:19]
	v_pk_fma_f32 v[20:21], v[6:7], s[14:15], v[74:75] neg_lo:[0,0,1] neg_hi:[0,0,1]
	v_pk_add_f32 v[0:1], v[2:3], v[0:1]
	v_pk_fma_f32 v[2:3], v[6:7], s[34:35], v[56:57] neg_lo:[0,0,1] neg_hi:[0,0,1]
	v_mov_b32_e32 v21, v91
	;; [unrolled: 6-line block ×3, first 2 shown]
	v_mov_b32_e32 v3, v67
	v_pk_add_f32 v[18:19], v[20:21], v[18:19]
	v_pk_add_f32 v[0:1], v[2:3], v[0:1]
	ds_write2_b64 v34, v[18:19], v[16:17] offset0:16 offset1:18
	ds_write2_b64 v34, v[14:15], v[12:13] offset0:20 offset1:22
	ds_write_b64 v34, v[0:1] offset:192
.LBB0_17:
	s_or_b64 exec, exec, s[36:37]
	v_lshl_add_u32 v30, v55, 3, 0
	v_add_u32_e32 v0, 0x800, v30
	v_add_u32_e32 v4, 0x1200, v30
	;; [unrolled: 1-line block ×3, first 2 shown]
	s_waitcnt lgkmcnt(0)
	s_barrier
	ds_read2_b64 v[0:3], v0 offset0:134 offset1:251
	ds_read2_b64 v[4:7], v4 offset0:48 offset1:204
	v_lshl_add_u32 v32, v77, 3, 0
	ds_read2_b64 v[8:11], v8 offset0:129 offset1:246
	v_lshl_add_u32 v33, v65, 3, 0
	ds_read_b64 v[22:23], v30
	ds_read_b64 v[20:21], v32
	;; [unrolled: 1-line block ×3, first 2 shown]
	v_cmp_gt_u32_e64 s[0:1], 39, v55
	v_lshl_add_u32 v31, v61, 3, 0
	s_and_saveexec_b64 s[2:3], s[0:1]
	s_cbranch_execz .LBB0_19
; %bb.18:
	ds_read_b64 v[14:15], v30 offset:5928
	ds_read_b64 v[16:17], v31
	ds_read_b64 v[12:13], v30 offset:9048
.LBB0_19:
	s_or_b64 exec, exec, s[2:3]
	s_movk_i32 s2, 0x4f
	v_mul_lo_u16_sdwa v29, v77, s2 dst_sel:DWORD dst_unused:UNUSED_PAD src0_sel:BYTE_0 src1_sel:DWORD
	v_lshrrev_b16_e32 v29, 11, v29
	v_mul_lo_u16_sdwa v26, v55, s2 dst_sel:DWORD dst_unused:UNUSED_PAD src0_sel:BYTE_0 src1_sel:DWORD
	v_mul_lo_u16_e32 v34, 26, v29
	s_movk_i32 s2, 0x4ec5
	v_sub_u16_e32 v37, v77, v34
	v_mul_u32_u24_sdwa v34, v65, s2 dst_sel:DWORD dst_unused:UNUSED_PAD src0_sel:WORD_0 src1_sel:DWORD
	v_lshrrev_b32_e32 v54, 19, v34
	v_mul_lo_u16_e32 v34, 26, v54
	v_sub_u16_e32 v56, v65, v34
	v_mul_u32_u24_sdwa v34, v61, s2 dst_sel:DWORD dst_unused:UNUSED_PAD src0_sel:WORD_0 src1_sel:DWORD
	v_lshrrev_b32_e32 v35, 19, v34
	v_mul_lo_u16_e32 v34, 26, v35
	v_lshrrev_b16_e32 v27, 11, v26
	v_sub_u16_e32 v36, v61, v34
	v_mul_lo_u16_e32 v26, 26, v27
	v_lshlrev_b32_e32 v34, 4, v36
	v_sub_u16_e32 v28, v55, v26
	v_mov_b32_e32 v26, 4
	global_load_dwordx4 v[38:41], v34, s[4:5] offset:192
	v_lshlrev_b32_e32 v34, 4, v56
	global_load_dwordx4 v[42:45], v34, s[4:5] offset:192
	v_lshlrev_b32_sdwa v34, v26, v37 dst_sel:DWORD dst_unused:UNUSED_PAD src0_sel:DWORD src1_sel:BYTE_0
	v_lshlrev_b32_sdwa v26, v26, v28 dst_sel:DWORD dst_unused:UNUSED_PAD src0_sel:DWORD src1_sel:BYTE_0
	global_load_dwordx4 v[46:49], v34, s[4:5] offset:192
	global_load_dwordx4 v[50:53], v26, s[4:5] offset:192
	v_mov_b32_e32 v34, 3
	s_waitcnt lgkmcnt(2)
	v_mov_b32_e32 v26, v15
	v_mul_u32_u24_e32 v15, 0x270, v27
	v_mul_u32_u24_e32 v27, 0x270, v29
	;; [unrolled: 1-line block ×3, first 2 shown]
	v_lshlrev_b32_sdwa v28, v34, v28 dst_sel:DWORD dst_unused:UNUSED_PAD src0_sel:DWORD src1_sel:BYTE_0
	v_lshlrev_b32_e32 v54, 3, v56
	v_lshlrev_b32_sdwa v37, v34, v37 dst_sel:DWORD dst_unused:UNUSED_PAD src0_sel:DWORD src1_sel:BYTE_0
	v_add3_u32 v60, 0, v15, v28
	v_add3_u32 v54, 0, v29, v54
	;; [unrolled: 1-line block ×3, first 2 shown]
	s_mov_b32 s2, 0x3f5db3d7
	s_waitcnt lgkmcnt(0)
	s_barrier
	s_waitcnt vmcnt(3)
	v_pk_mul_f32 v[28:29], v[26:27], v[38:39] op_sel_hi:[0,1]
	v_pk_mul_f32 v[56:57], v[12:13], v[40:41] op_sel:[1,0]
	s_waitcnt vmcnt(2)
	v_pk_mul_f32 v[58:59], v[42:43], v[4:5] op_sel:[0,1]
	v_pk_mul_f32 v[62:63], v[44:45], v[10:11] op_sel:[0,1]
	v_pk_fma_f32 v[26:27], v[14:15], v[38:39], v[28:29] op_sel:[0,0,1] op_sel_hi:[1,1,0]
	s_waitcnt vmcnt(1)
	v_pk_mul_f32 v[66:67], v[46:47], v[2:3] op_sel:[0,1]
	v_pk_mul_f32 v[68:69], v[48:49], v[8:9] op_sel:[0,1]
	s_waitcnt vmcnt(0)
	v_pk_mul_f32 v[70:71], v[50:51], v[0:1] op_sel:[0,1]
	v_pk_mul_f32 v[72:73], v[52:53], v[6:7] op_sel:[0,1]
	v_pk_fma_f32 v[14:15], v[14:15], v[38:39], v[28:29] op_sel:[0,0,1] op_sel_hi:[0,1,0] neg_lo:[1,0,0] neg_hi:[1,0,0]
	v_pk_fma_f32 v[28:29], v[12:13], v[40:41], v[56:57] op_sel:[0,0,1] op_sel_hi:[1,1,0]
	v_pk_fma_f32 v[12:13], v[12:13], v[40:41], v[56:57] op_sel:[0,0,1] op_sel_hi:[0,1,0] neg_lo:[1,0,0] neg_hi:[1,0,0]
	v_pk_fma_f32 v[38:39], v[42:43], v[4:5], v[58:59] op_sel:[0,0,1] op_sel_hi:[1,1,0]
	;; [unrolled: 2-line block ×7, first 2 shown]
	v_pk_fma_f32 v[6:7], v[52:53], v[6:7], v[72:73] op_sel:[0,0,1] op_sel_hi:[1,0,0] neg_lo:[1,0,0] neg_hi:[1,0,0]
	v_mov_b32_e32 v27, v15
	v_mov_b32_e32 v29, v13
	;; [unrolled: 1-line block ×6, first 2 shown]
	v_pk_add_f32 v[0:1], v[26:27], v[28:29]
	v_pk_add_f32 v[2:3], v[26:27], v[28:29] neg_lo:[0,1] neg_hi:[0,1]
	v_pk_add_f32 v[10:11], v[46:47], v[48:49]
	v_pk_add_f32 v[12:13], v[46:47], v[48:49] neg_lo:[0,1] neg_hi:[0,1]
	v_mov_b32_e32 v45, v9
	v_pk_add_f32 v[8:9], v[22:23], v[46:47]
	v_pk_fma_f32 v[0:1], v[0:1], 0.5, v[16:17] op_sel_hi:[1,0,1] neg_lo:[1,0,0] neg_hi:[1,0,0]
	v_pk_mul_f32 v[2:3], v[2:3], s[2:3] op_sel_hi:[1,0]
	v_pk_fma_f32 v[10:11], v[10:11], 0.5, v[22:23] op_sel_hi:[1,0,1] neg_lo:[1,0,0] neg_hi:[1,0,0]
	v_pk_mul_f32 v[22:23], v[12:13], s[2:3] op_sel_hi:[1,0]
	v_pk_add_f32 v[12:13], v[0:1], v[2:3] op_sel:[0,1] op_sel_hi:[1,0] neg_lo:[0,1] neg_hi:[0,1]
	v_pk_add_f32 v[14:15], v[0:1], v[2:3] op_sel:[0,1] op_sel_hi:[1,0]
	v_pk_add_f32 v[0:1], v[10:11], v[22:23] op_sel:[0,1] op_sel_hi:[1,0] neg_lo:[0,1] neg_hi:[0,1]
	v_pk_add_f32 v[2:3], v[10:11], v[22:23] op_sel:[0,1] op_sel_hi:[1,0]
	v_mov_b32_e32 v10, v0
	v_mov_b32_e32 v11, v3
	v_mov_b32_e32 v3, v1
	ds_write_b64 v60, v[2:3] offset:416
	v_pk_add_f32 v[0:1], v[42:43], v[44:45]
	v_pk_add_f32 v[2:3], v[42:43], v[44:45] neg_lo:[0,1] neg_hi:[0,1]
	v_pk_add_f32 v[8:9], v[8:9], v[48:49]
	v_pk_fma_f32 v[0:1], v[0:1], 0.5, v[20:21] op_sel_hi:[1,0,1] neg_lo:[1,0,0] neg_hi:[1,0,0]
	v_pk_mul_f32 v[2:3], v[2:3], s[2:3] op_sel_hi:[1,0]
	v_pk_add_f32 v[6:7], v[20:21], v[42:43]
	ds_write2_b64 v60, v[8:9], v[10:11] offset1:26
	v_pk_add_f32 v[8:9], v[0:1], v[2:3] op_sel:[0,1] op_sel_hi:[1,0] neg_lo:[0,1] neg_hi:[0,1]
	v_pk_add_f32 v[0:1], v[0:1], v[2:3] op_sel:[0,1] op_sel_hi:[1,0]
	v_mov_b32_e32 v39, v5
	v_pk_add_f32 v[6:7], v[6:7], v[44:45]
	v_mov_b32_e32 v2, v8
	v_mov_b32_e32 v3, v1
	;; [unrolled: 1-line block ×3, first 2 shown]
	ds_write2_b64 v37, v[6:7], v[2:3] offset1:26
	ds_write_b64 v37, v[0:1] offset:416
	v_pk_add_f32 v[0:1], v[38:39], v[40:41]
	v_pk_add_f32 v[2:3], v[38:39], v[40:41] neg_lo:[0,1] neg_hi:[0,1]
	v_pk_fma_f32 v[0:1], v[0:1], 0.5, v[18:19] op_sel_hi:[1,0,1] neg_lo:[1,0,0] neg_hi:[1,0,0]
	v_pk_mul_f32 v[2:3], v[2:3], s[2:3] op_sel_hi:[1,0]
	v_pk_add_f32 v[4:5], v[18:19], v[38:39]
	v_pk_add_f32 v[6:7], v[0:1], v[2:3] op_sel:[0,1] op_sel_hi:[1,0] neg_lo:[0,1] neg_hi:[0,1]
	v_pk_add_f32 v[0:1], v[0:1], v[2:3] op_sel:[0,1] op_sel_hi:[1,0]
	v_pk_add_f32 v[4:5], v[4:5], v[40:41]
	v_mov_b32_e32 v2, v6
	v_mov_b32_e32 v3, v1
	;; [unrolled: 1-line block ×3, first 2 shown]
	ds_write2_b64 v54, v[4:5], v[2:3] offset1:26
	ds_write_b64 v54, v[0:1] offset:416
	s_and_saveexec_b64 s[2:3], s[0:1]
	s_cbranch_execz .LBB0_21
; %bb.20:
	v_mul_lo_u16_e32 v0, 0x4e, v35
	v_lshlrev_b32_e32 v1, 3, v36
	v_lshlrev_b32_e32 v0, 3, v0
	v_add3_u32 v4, 0, v1, v0
	v_pk_add_f32 v[0:1], v[16:17], v[26:27]
	v_mov_b32_e32 v2, v12
	v_pk_add_f32 v[0:1], v[0:1], v[28:29]
	v_mov_b32_e32 v3, v15
	ds_write2_b64 v4, v[0:1], v[2:3] offset1:26
	v_mov_b32_e32 v0, v14
	v_mov_b32_e32 v1, v13
	ds_write_b64 v4, v[0:1] offset:416
.LBB0_21:
	s_or_b64 exec, exec, s[2:3]
	s_movk_i32 s2, 0x4e
	v_add_u32_e32 v0, 0xffffffb2, v55
	v_cmp_gt_u32_e64 s[2:3], s2, v55
	v_mov_b32_e32 v1, 0
	s_waitcnt lgkmcnt(0)
	v_cndmask_b32_e64 v35, v0, v55, s[2:3]
	v_lshlrev_b32_e32 v0, 2, v35
	v_lshl_add_u64 v[8:9], v[0:1], 3, s[4:5]
	s_barrier
	global_load_dwordx4 v[0:3], v[8:9], off offset:608
	global_load_dwordx4 v[4:7], v[8:9], off offset:624
	v_lshrrev_b16_e32 v8, 1, v77
	v_and_b32_e32 v8, 0x7f, v8
	v_mul_lo_u16_e32 v8, 0xd3, v8
	v_lshrrev_b16_e32 v54, 13, v8
	v_mul_lo_u16_e32 v8, 0x4e, v54
	v_mov_b32_e32 v9, 5
	v_sub_u16_e32 v60, v77, v8
	v_lshlrev_b32_sdwa v20, v9, v60 dst_sel:DWORD dst_unused:UNUSED_PAD src0_sel:DWORD src1_sel:BYTE_0
	global_load_dwordx4 v[8:11], v20, s[4:5] offset:608
	global_load_dwordx4 v[16:19], v20, s[4:5] offset:624
	v_lshl_add_u32 v20, v154, 3, 0
	v_add_u32_e32 v21, 0x1400, v30
	v_add_u32_e32 v26, 0x1c00, v30
	;; [unrolled: 1-line block ×3, first 2 shown]
	s_movk_i32 s2, 0x4d
	v_mov_b32_e32 v42, 0xc30
	ds_read_b64 v[40:41], v20
	ds_read2_b64 v[20:23], v21 offset0:62 offset1:179
	ds_read2_b64 v[26:29], v26 offset0:40 offset1:157
	;; [unrolled: 1-line block ×3, first 2 shown]
	v_cmp_lt_u32_e64 s[2:3], s2, v55
	v_lshlrev_b32_e32 v35, 3, v35
	s_mov_b32 s12, 0x3f737871
	v_cndmask_b32_e64 v48, 0, v42, s[2:3]
	ds_read_b64 v[42:43], v33
	ds_read_b64 v[44:45], v32
	;; [unrolled: 1-line block ×3, first 2 shown]
	v_add3_u32 v35, 0, v48, v35
	s_mov_b32 s10, 0x3f167918
	s_mov_b32 s6, 0x3e9e377a
	s_waitcnt lgkmcnt(0)
	s_barrier
	s_waitcnt vmcnt(3)
	v_pk_mul_f32 v[48:49], v[0:1], v[42:43] op_sel:[0,1]
	v_pk_mul_f32 v[50:51], v[2:3], v[40:41] op_sel:[0,1]
	s_waitcnt vmcnt(2)
	v_pk_mul_f32 v[52:53], v[4:5], v[20:21] op_sel:[0,1]
	v_pk_mul_f32 v[56:57], v[6:7], v[26:27] op_sel:[0,1]
	v_pk_fma_f32 v[58:59], v[0:1], v[42:43], v[48:49] op_sel:[0,0,1] op_sel_hi:[1,1,0]
	v_pk_fma_f32 v[0:1], v[0:1], v[42:43], v[48:49] op_sel:[0,0,1] op_sel_hi:[1,0,0] neg_lo:[1,0,0] neg_hi:[1,0,0]
	v_pk_fma_f32 v[42:43], v[2:3], v[40:41], v[50:51] op_sel:[0,0,1] op_sel_hi:[1,1,0]
	v_pk_fma_f32 v[2:3], v[2:3], v[40:41], v[50:51] op_sel:[0,0,1] op_sel_hi:[1,0,0] neg_lo:[1,0,0] neg_hi:[1,0,0]
	v_pk_fma_f32 v[40:41], v[4:5], v[20:21], v[52:53] op_sel:[0,0,1] op_sel_hi:[1,1,0]
	v_pk_fma_f32 v[4:5], v[4:5], v[20:21], v[52:53] op_sel:[0,0,1] op_sel_hi:[1,0,0] neg_lo:[1,0,0] neg_hi:[1,0,0]
	v_pk_fma_f32 v[20:21], v[6:7], v[26:27], v[56:57] op_sel:[0,0,1] op_sel_hi:[1,1,0]
	v_pk_fma_f32 v[6:7], v[6:7], v[26:27], v[56:57] op_sel:[0,0,1] op_sel_hi:[1,0,0] neg_lo:[1,0,0] neg_hi:[1,0,0]
	v_mov_b32_e32 v59, v1
	v_mov_b32_e32 v41, v5
	s_waitcnt vmcnt(1)
	v_pk_mul_f32 v[0:1], v[8:9], v[36:37] op_sel:[0,1]
	s_waitcnt vmcnt(0)
	v_pk_mul_f32 v[4:5], v[22:23], v[16:17] op_sel:[0,1]
	v_mov_b32_e32 v6, v19
	v_mov_b32_e32 v43, v3
	;; [unrolled: 1-line block ×4, first 2 shown]
	v_pk_fma_f32 v[48:49], v[8:9], v[36:37], v[0:1] op_sel:[0,0,1] op_sel_hi:[1,1,0]
	v_pk_fma_f32 v[0:1], v[8:9], v[36:37], v[0:1] op_sel:[0,0,1] op_sel_hi:[1,0,0] neg_lo:[1,0,0] neg_hi:[1,0,0]
	v_pk_fma_f32 v[8:9], v[22:23], v[16:17], v[4:5] op_sel:[0,0,1] op_sel_hi:[1,1,0]
	v_pk_fma_f32 v[4:5], v[22:23], v[16:17], v[4:5] op_sel:[0,0,1] op_sel_hi:[1,0,0] neg_lo:[0,0,1] neg_hi:[0,0,1]
	v_pk_mul_f32 v[6:7], v[28:29], v[6:7] op_sel_hi:[1,0]
	v_pk_mul_f32 v[2:3], v[38:39], v[2:3] op_sel_hi:[1,0]
	v_mov_b32_e32 v9, v5
	v_pk_fma_f32 v[4:5], v[28:29], v[18:19], v[6:7] op_sel:[0,0,1] op_sel_hi:[1,1,0]
	v_pk_fma_f32 v[6:7], v[28:29], v[18:19], v[6:7] op_sel:[0,0,1] op_sel_hi:[1,0,0] neg_lo:[0,0,1] neg_hi:[0,0,1]
	v_pk_add_f32 v[28:29], v[42:43], v[40:41]
	v_pk_add_f32 v[36:37], v[58:59], v[20:21] neg_lo:[0,1] neg_hi:[0,1]
	v_mov_b32_e32 v49, v1
	v_pk_fma_f32 v[0:1], v[38:39], v[10:11], v[2:3] op_sel:[0,0,1] op_sel_hi:[1,1,0]
	v_pk_fma_f32 v[2:3], v[38:39], v[10:11], v[2:3] op_sel:[0,0,1] op_sel_hi:[1,0,0] neg_lo:[0,0,1] neg_hi:[0,0,1]
	v_pk_fma_f32 v[28:29], v[28:29], 0.5, v[46:47] op_sel_hi:[1,0,1] neg_lo:[1,0,0] neg_hi:[1,0,0]
	v_pk_mul_f32 v[38:39], v[36:37], s[12:13] op_sel_hi:[1,0]
	v_pk_add_f32 v[50:51], v[42:43], v[40:41] neg_lo:[0,1] neg_hi:[0,1]
	v_pk_add_f32 v[56:57], v[58:59], v[42:43] neg_lo:[0,1] neg_hi:[0,1]
	;; [unrolled: 1-line block ×3, first 2 shown]
	v_pk_add_f32 v[26:27], v[46:47], v[58:59]
	v_pk_mul_f32 v[52:53], v[50:51], s[10:11] op_sel_hi:[1,0]
	v_pk_add_f32 v[56:57], v[56:57], v[62:63]
	v_pk_add_f32 v[62:63], v[28:29], v[38:39] op_sel:[0,1] op_sel_hi:[1,0] neg_lo:[0,1] neg_hi:[0,1]
	v_pk_add_f32 v[28:29], v[28:29], v[38:39] op_sel:[0,1] op_sel_hi:[1,0]
	v_pk_add_f32 v[16:17], v[26:27], v[42:43]
	v_pk_add_f32 v[28:29], v[28:29], v[52:53] op_sel:[0,1] op_sel_hi:[1,0]
	v_pk_add_f32 v[38:39], v[62:63], v[52:53] op_sel:[0,1] op_sel_hi:[1,0] neg_lo:[0,1] neg_hi:[0,1]
	v_pk_add_f32 v[10:11], v[16:17], v[40:41]
	v_mov_b32_e32 v52, v38
	v_mov_b32_e32 v53, v29
	;; [unrolled: 1-line block ×3, first 2 shown]
	v_pk_add_f32 v[2:3], v[10:11], v[20:21]
	v_pk_fma_f32 v[52:53], v[56:57], s[6:7], v[52:53] op_sel_hi:[1,0,1]
	ds_write2_b64 v35, v[2:3], v[52:53] offset1:78
	v_pk_add_f32 v[2:3], v[58:59], v[20:21]
	v_pk_add_f32 v[42:43], v[42:43], v[58:59] neg_lo:[0,1] neg_hi:[0,1]
	v_pk_fma_f32 v[2:3], v[2:3], 0.5, v[46:47] op_sel_hi:[1,0,1] neg_lo:[1,0,0] neg_hi:[1,0,0]
	v_pk_add_f32 v[20:21], v[40:41], v[20:21] neg_lo:[0,1] neg_hi:[0,1]
	v_pk_mul_f32 v[40:41], v[50:51], s[12:13] op_sel_hi:[1,0]
	v_pk_add_f32 v[20:21], v[42:43], v[20:21]
	v_pk_mul_f32 v[36:37], v[36:37], s[10:11] op_sel_hi:[1,0]
	v_pk_add_f32 v[42:43], v[2:3], v[40:41] op_sel:[0,1] op_sel_hi:[1,0]
	v_pk_add_f32 v[2:3], v[2:3], v[40:41] op_sel:[0,1] op_sel_hi:[1,0] neg_lo:[0,1] neg_hi:[0,1]
	v_mov_b32_e32 v29, v39
	v_pk_add_f32 v[2:3], v[2:3], v[36:37] op_sel:[0,1] op_sel_hi:[1,0]
	v_pk_add_f32 v[36:37], v[42:43], v[36:37] op_sel:[0,1] op_sel_hi:[1,0] neg_lo:[0,1] neg_hi:[0,1]
	v_mov_b32_e32 v41, v3
	v_mov_b32_e32 v40, v36
	;; [unrolled: 1-line block ×3, first 2 shown]
	v_pk_fma_f32 v[40:41], v[20:21], s[6:7], v[40:41] op_sel_hi:[1,0,1]
	v_pk_fma_f32 v[2:3], v[20:21], s[6:7], v[2:3] op_sel_hi:[1,0,1]
	v_mov_b32_e32 v5, v7
	v_pk_add_f32 v[6:7], v[0:1], v[8:9]
	ds_write2_b64 v35, v[40:41], v[2:3] offset0:156 offset1:234
	v_pk_fma_f32 v[2:3], v[56:57], s[6:7], v[28:29] op_sel_hi:[1,0,1]
	v_pk_add_f32 v[10:11], v[48:49], v[4:5] neg_lo:[0,1] neg_hi:[0,1]
	v_pk_add_f32 v[16:17], v[48:49], v[0:1] neg_lo:[0,1] neg_hi:[0,1]
	;; [unrolled: 1-line block ×3, first 2 shown]
	v_pk_fma_f32 v[6:7], v[6:7], 0.5, v[44:45] op_sel_hi:[1,0,1] neg_lo:[1,0,0] neg_hi:[1,0,0]
	ds_write_b64 v35, v[2:3] offset:2496
	v_mul_u32_u24_e32 v2, 0xc30, v54
	v_lshlrev_b32_sdwa v3, v34, v60 dst_sel:DWORD dst_unused:UNUSED_PAD src0_sel:DWORD src1_sel:BYTE_0
	v_pk_add_f32 v[18:19], v[0:1], v[8:9] neg_lo:[0,1] neg_hi:[0,1]
	v_pk_add_f32 v[22:23], v[16:17], v[22:23]
	v_pk_fma_f32 v[16:17], v[10:11], s[12:13], v[6:7] op_sel:[1,0,0] op_sel_hi:[0,0,1]
	v_pk_fma_f32 v[6:7], v[10:11], s[12:13], v[6:7] op_sel:[1,0,0] op_sel_hi:[0,0,1] neg_lo:[1,0,0] neg_hi:[1,0,0]
	v_add3_u32 v20, 0, v2, v3
	v_pk_add_f32 v[2:3], v[44:45], v[48:49]
	v_pk_fma_f32 v[6:7], v[18:19], s[10:11], v[6:7] op_sel:[1,0,0] op_sel_hi:[0,0,1] neg_lo:[1,0,0] neg_hi:[1,0,0]
	v_pk_fma_f32 v[26:27], v[18:19], s[10:11], v[16:17] op_sel:[1,0,0] op_sel_hi:[0,0,1]
	v_pk_add_f32 v[2:3], v[2:3], v[0:1]
	v_mov_b32_e32 v17, v7
	v_pk_add_f32 v[2:3], v[2:3], v[8:9]
	v_mov_b32_e32 v7, v27
	v_pk_add_f32 v[2:3], v[2:3], v[4:5]
	v_pk_fma_f32 v[6:7], v[22:23], s[6:7], v[6:7] op_sel_hi:[1,0,1]
	ds_write2_b64 v20, v[2:3], v[6:7] offset1:78
	v_pk_add_f32 v[2:3], v[48:49], v[4:5]
	v_pk_add_f32 v[0:1], v[0:1], v[48:49] neg_lo:[0,1] neg_hi:[0,1]
	v_pk_fma_f32 v[2:3], v[2:3], 0.5, v[44:45] op_sel_hi:[1,0,1] neg_lo:[1,0,0] neg_hi:[1,0,0]
	v_pk_add_f32 v[4:5], v[8:9], v[4:5] neg_lo:[0,1] neg_hi:[0,1]
	v_mov_b32_e32 v16, v26
	v_pk_add_f32 v[0:1], v[0:1], v[4:5]
	v_pk_fma_f32 v[4:5], v[18:19], s[12:13], v[2:3] op_sel:[1,0,0] op_sel_hi:[0,0,1]
	v_pk_fma_f32 v[2:3], v[18:19], s[12:13], v[2:3] op_sel:[1,0,0] op_sel_hi:[0,0,1] neg_lo:[1,0,0] neg_hi:[1,0,0]
	v_pk_fma_f32 v[2:3], v[10:11], s[10:11], v[2:3] op_sel:[1,0,0] op_sel_hi:[0,0,1]
	v_pk_fma_f32 v[4:5], v[10:11], s[10:11], v[4:5] op_sel:[1,0,0] op_sel_hi:[0,0,1] neg_lo:[1,0,0] neg_hi:[1,0,0]
	v_mov_b32_e32 v6, v4
	v_mov_b32_e32 v7, v3
	;; [unrolled: 1-line block ×3, first 2 shown]
	v_pk_fma_f32 v[6:7], v[0:1], s[6:7], v[6:7] op_sel_hi:[1,0,1]
	v_pk_fma_f32 v[0:1], v[0:1], s[6:7], v[2:3] op_sel_hi:[1,0,1]
	;; [unrolled: 1-line block ×3, first 2 shown]
	ds_write2_b64 v20, v[6:7], v[0:1] offset0:156 offset1:234
	ds_write_b64 v20, v[16:17] offset:2496
	v_add_u32_e32 v0, 0x800, v30
	s_waitcnt lgkmcnt(0)
	s_barrier
	ds_read2_b64 v[8:11], v0 offset0:134 offset1:251
	v_add_u32_e32 v0, 0x1200, v30
	ds_read2_b64 v[4:7], v0 offset0:48 offset1:204
	v_add_u32_e32 v0, 0x1800, v30
	ds_read2_b64 v[0:3], v0 offset0:129 offset1:246
	ds_read_b64 v[26:27], v30
	ds_read_b64 v[22:23], v32
	ds_read_b64 v[18:19], v33
	s_and_saveexec_b64 s[2:3], s[0:1]
	s_cbranch_execz .LBB0_23
; %bb.22:
	ds_read_b64 v[12:13], v30 offset:9048
	ds_read_b64 v[20:21], v30 offset:5928
	ds_read_b64 v[16:17], v31
	s_waitcnt lgkmcnt(2)
	v_mov_b32_e32 v14, v12
	s_waitcnt lgkmcnt(1)
	v_mov_b32_e32 v15, v21
	v_mov_b32_e32 v12, v20
.LBB0_23:
	s_or_b64 exec, exec, s[2:3]
	s_and_saveexec_b64 s[2:3], vcc
	s_cbranch_execz .LBB0_26
; %bb.24:
	v_mov_b32_e32 v21, 0
	v_lshlrev_b32_e32 v28, 1, v55
	v_mov_b32_e32 v29, v21
	v_lshlrev_b32_e32 v32, 1, v77
	v_mov_b32_e32 v33, v21
	v_lshl_add_u64 v[28:29], v[28:29], 3, s[4:5]
	global_load_dwordx4 v[28:31], v[28:29], off offset:3104
	v_lshl_add_u64 v[32:33], v[32:33], 3, s[4:5]
	global_load_dwordx4 v[32:35], v[32:33], off offset:3104
	v_lshlrev_b32_e32 v20, 1, v65
	v_mad_u64_u32 v[40:41], s[2:3], s8, v55, 0
	v_lshl_add_u64 v[36:37], v[20:21], 3, s[4:5]
	v_mov_b32_e32 v20, v41
	v_mad_u64_u32 v[38:39], s[6:7], s9, v55, v[20:21]
	v_mov_b32_e32 v41, v38
	global_load_dwordx4 v[36:39], v[36:37], off offset:3104
	v_add_u32_e32 v53, 0x186, v55
	v_add_u32_e32 v57, 0x30c, v55
	v_add_u32_e32 v60, 0x1fb, v55
	v_add_u32_e32 v59, 0x75, v55
	v_add_u32_e32 v66, 0x381, v55
	v_mad_u64_u32 v[42:43], s[6:7], s8, v53, 0
	v_mad_u64_u32 v[44:45], s[6:7], s8, v57, 0
	;; [unrolled: 1-line block ×5, first 2 shown]
	v_mov_b32_e32 v20, v43
	v_mov_b32_e32 v52, v45
	;; [unrolled: 1-line block ×5, first 2 shown]
	v_mad_u64_u32 v[62:63], s[6:7], s9, v53, v[20:21]
	v_mad_u64_u32 v[52:53], s[6:7], s9, v57, v[52:53]
	;; [unrolled: 1-line block ×5, first 2 shown]
	v_mov_b32_e32 v45, v52
	v_mov_b32_e32 v49, v56
	;; [unrolled: 1-line block ×5, first 2 shown]
	s_movk_i32 s3, 0x30c
	s_mov_b32 s2, 0x3f5db3d7
	v_lshl_add_u64 v[40:41], v[40:41], 3, v[24:25]
	v_lshl_add_u64 v[42:43], v[42:43], 3, v[24:25]
	v_lshl_add_u64 v[44:45], v[44:45], 3, v[24:25]
	v_lshl_add_u64 v[46:47], v[46:47], 3, v[24:25]
	s_mov_b32 s6, 0xa80a80a9
	v_lshl_add_u64 v[48:49], v[48:49], 3, v[24:25]
	v_lshl_add_u64 v[50:51], v[50:51], 3, v[24:25]
	s_waitcnt vmcnt(2) lgkmcnt(5)
	v_pk_mul_f32 v[52:53], v[28:29], v[8:9] op_sel:[0,1]
	s_waitcnt lgkmcnt(4)
	v_pk_mul_f32 v[56:57], v[30:31], v[6:7] op_sel:[0,1]
	s_waitcnt vmcnt(1)
	v_pk_mul_f32 v[58:59], v[32:33], v[10:11] op_sel:[0,1]
	s_waitcnt lgkmcnt(3)
	v_pk_mul_f32 v[62:63], v[34:35], v[0:1] op_sel:[0,1]
	v_pk_fma_f32 v[64:65], v[28:29], v[8:9], v[52:53] op_sel:[0,0,1] op_sel_hi:[1,1,0]
	v_pk_fma_f32 v[8:9], v[28:29], v[8:9], v[52:53] op_sel:[0,0,1] op_sel_hi:[1,0,0] neg_lo:[1,0,0] neg_hi:[1,0,0]
	v_pk_fma_f32 v[28:29], v[30:31], v[6:7], v[56:57] op_sel:[0,0,1] op_sel_hi:[1,1,0]
	v_pk_fma_f32 v[6:7], v[30:31], v[6:7], v[56:57] op_sel:[0,0,1] op_sel_hi:[1,0,0] neg_lo:[1,0,0] neg_hi:[1,0,0]
	;; [unrolled: 2-line block ×4, first 2 shown]
	v_mov_b32_e32 v65, v9
	v_mov_b32_e32 v29, v7
	;; [unrolled: 1-line block ×3, first 2 shown]
	v_pk_add_f32 v[0:1], v[64:65], v[28:29]
	v_pk_add_f32 v[6:7], v[64:65], v[28:29] neg_lo:[0,1] neg_hi:[0,1]
	s_waitcnt lgkmcnt(2)
	v_pk_fma_f32 v[0:1], v[0:1], 0.5, v[26:27] op_sel_hi:[1,0,1] neg_lo:[1,0,0] neg_hi:[1,0,0]
	v_pk_mul_f32 v[6:7], v[6:7], s[2:3] op_sel_hi:[1,0]
	v_mov_b32_e32 v31, v11
	v_pk_add_f32 v[8:9], v[26:27], v[64:65]
	v_pk_add_f32 v[10:11], v[0:1], v[6:7] op_sel:[0,1] op_sel_hi:[1,0]
	v_pk_add_f32 v[0:1], v[0:1], v[6:7] op_sel:[0,1] op_sel_hi:[1,0] neg_lo:[0,1] neg_hi:[0,1]
	v_pk_add_f32 v[8:9], v[8:9], v[28:29]
	v_mov_b32_e32 v6, v0
	v_mov_b32_e32 v7, v11
	global_store_dwordx2 v[40:41], v[8:9], off
	v_mov_b32_e32 v11, v1
	global_store_dwordx2 v[42:43], v[6:7], off
	global_store_dwordx2 v[44:45], v[10:11], off
	v_pk_add_f32 v[0:1], v[30:31], v[32:33]
	v_pk_add_f32 v[6:7], v[30:31], v[32:33] neg_lo:[0,1] neg_hi:[0,1]
	s_waitcnt lgkmcnt(1)
	v_pk_fma_f32 v[0:1], v[0:1], 0.5, v[22:23] op_sel_hi:[1,0,1] neg_lo:[1,0,0] neg_hi:[1,0,0]
	v_pk_mul_f32 v[6:7], v[6:7], s[2:3] op_sel_hi:[1,0]
	s_nop 0
	v_pk_add_f32 v[8:9], v[0:1], v[6:7] op_sel:[0,1] op_sel_hi:[1,0]
	v_pk_add_f32 v[0:1], v[0:1], v[6:7] op_sel:[0,1] op_sel_hi:[1,0] neg_lo:[0,1] neg_hi:[0,1]
	v_pk_add_f32 v[6:7], v[22:23], v[30:31]
	s_nop 0
	v_pk_add_f32 v[6:7], v[6:7], v[32:33]
	global_store_dwordx2 v[46:47], v[6:7], off
	v_mov_b32_e32 v6, v0
	v_add_u32_e32 v0, 0xea, v55
	v_mov_b32_e32 v7, v9
	v_mov_b32_e32 v9, v1
	v_lshrrev_b32_e32 v1, 1, v0
	v_mul_hi_u32 v1, v1, s6
	v_lshrrev_b32_e32 v1, 7, v1
	v_mad_u32_u24 v10, v1, s3, v0
	v_mad_u64_u32 v[0:1], s[6:7], s8, v10, 0
	global_store_dwordx2 v[48:49], v[6:7], off
	v_mov_b32_e32 v6, v1
	global_store_dwordx2 v[50:51], v[8:9], off
	v_mad_u64_u32 v[6:7], s[6:7], s9, v10, v[6:7]
	v_add_u32_e32 v9, 0x186, v10
	v_mov_b32_e32 v1, v6
	v_mad_u64_u32 v[6:7], s[6:7], s8, v9, 0
	v_mov_b32_e32 v8, v7
	v_mad_u64_u32 v[8:9], s[6:7], s9, v9, v[8:9]
	v_add_u32_e32 v11, 0x30c, v10
	v_mov_b32_e32 v7, v8
	v_mad_u64_u32 v[8:9], s[6:7], s8, v11, 0
	v_mov_b32_e32 v10, v9
	v_mad_u64_u32 v[10:11], s[6:7], s9, v11, v[10:11]
	v_mov_b32_e32 v9, v10
	s_waitcnt vmcnt(6)
	v_pk_mul_f32 v[10:11], v[36:37], v[4:5] op_sel:[0,1]
	v_lshl_add_u64 v[0:1], v[0:1], 3, v[24:25]
	v_pk_fma_f32 v[22:23], v[36:37], v[4:5], v[10:11] op_sel:[0,0,1] op_sel_hi:[1,1,0]
	v_pk_fma_f32 v[4:5], v[36:37], v[4:5], v[10:11] op_sel:[0,0,1] op_sel_hi:[1,0,0] neg_lo:[1,0,0] neg_hi:[1,0,0]
	v_lshl_add_u64 v[6:7], v[6:7], 3, v[24:25]
	v_mov_b32_e32 v23, v5
	v_pk_mul_f32 v[4:5], v[38:39], v[2:3] op_sel:[0,1]
	v_lshl_add_u64 v[8:9], v[8:9], 3, v[24:25]
	v_pk_fma_f32 v[10:11], v[38:39], v[2:3], v[4:5] op_sel:[0,0,1] op_sel_hi:[1,1,0]
	v_pk_fma_f32 v[2:3], v[38:39], v[2:3], v[4:5] op_sel:[0,0,1] op_sel_hi:[1,0,0] neg_lo:[1,0,0] neg_hi:[1,0,0]
	s_nop 0
	v_mov_b32_e32 v11, v3
	v_pk_add_f32 v[2:3], v[22:23], v[10:11]
	v_pk_add_f32 v[4:5], v[22:23], v[10:11] neg_lo:[0,1] neg_hi:[0,1]
	s_waitcnt lgkmcnt(0)
	v_pk_fma_f32 v[2:3], v[2:3], 0.5, v[18:19] op_sel_hi:[1,0,1] neg_lo:[1,0,0] neg_hi:[1,0,0]
	v_pk_mul_f32 v[4:5], v[4:5], s[2:3] op_sel_hi:[1,0]
	s_nop 0
	v_pk_add_f32 v[26:27], v[2:3], v[4:5] op_sel:[0,1] op_sel_hi:[1,0]
	v_pk_add_f32 v[2:3], v[2:3], v[4:5] op_sel:[0,1] op_sel_hi:[1,0] neg_lo:[0,1] neg_hi:[0,1]
	v_pk_add_f32 v[4:5], v[18:19], v[22:23]
	s_nop 0
	v_pk_add_f32 v[4:5], v[4:5], v[10:11]
	global_store_dwordx2 v[0:1], v[4:5], off
	v_mov_b32_e32 v0, v2
	v_mov_b32_e32 v1, v27
	;; [unrolled: 1-line block ×3, first 2 shown]
	global_store_dwordx2 v[6:7], v[0:1], off
	global_store_dwordx2 v[8:9], v[26:27], off
	s_and_b64 exec, exec, s[0:1]
	s_cbranch_execz .LBB0_26
; %bb.25:
	v_subrev_u32_e32 v0, 39, v55
	v_cndmask_b32_e64 v0, v0, v61, s[0:1]
	v_lshlrev_b32_e32 v20, 1, v0
	v_lshl_add_u64 v[0:1], v[20:21], 3, s[4:5]
	global_load_dwordx4 v[0:3], v[0:1], off offset:3104
	v_add_u32_e32 v5, 0x15f, v55
	v_add_u32_e32 v7, 0x2e5, v55
	v_mad_u64_u32 v[8:9], s[0:1], s8, v5, 0
	v_mad_u64_u32 v[10:11], s[0:1], s8, v7, 0
	v_mov_b32_e32 v4, v15
	v_mov_b32_e32 v6, v13
	;; [unrolled: 1-line block ×4, first 2 shown]
	v_add_u32_e32 v15, 0x46b, v55
	v_mad_u64_u32 v[20:21], s[0:1], s9, v5, v[20:21]
	v_mad_u64_u32 v[22:23], s[0:1], s9, v7, v[22:23]
	v_mov_b32_e32 v9, v20
	v_mad_u64_u32 v[18:19], s[0:1], s8, v15, 0
	v_mov_b32_e32 v26, v19
	;; [unrolled: 2-line block ×3, first 2 shown]
	v_mov_b32_e32 v19, v26
	v_lshl_add_u64 v[8:9], v[8:9], 3, v[24:25]
	v_lshl_add_u64 v[10:11], v[10:11], 3, v[24:25]
	;; [unrolled: 1-line block ×3, first 2 shown]
	s_waitcnt vmcnt(0)
	v_pk_mul_f32 v[4:5], v[4:5], v[0:1] op_sel_hi:[0,1]
	v_pk_mul_f32 v[6:7], v[6:7], v[2:3] op_sel_hi:[0,1]
	v_pk_fma_f32 v[20:21], v[12:13], v[0:1], v[4:5] op_sel:[0,0,1] op_sel_hi:[1,1,0]
	v_pk_fma_f32 v[0:1], v[12:13], v[0:1], v[4:5] op_sel:[0,0,1] op_sel_hi:[0,1,0] neg_lo:[1,0,0] neg_hi:[1,0,0]
	v_pk_fma_f32 v[4:5], v[14:15], v[2:3], v[6:7] op_sel:[0,0,1] op_sel_hi:[1,1,0]
	v_pk_fma_f32 v[2:3], v[14:15], v[2:3], v[6:7] op_sel:[0,0,1] op_sel_hi:[0,1,0] neg_lo:[1,0,0] neg_hi:[1,0,0]
	v_mov_b32_e32 v21, v1
	v_mov_b32_e32 v5, v3
	v_pk_add_f32 v[0:1], v[20:21], v[4:5]
	v_pk_add_f32 v[2:3], v[20:21], v[4:5] neg_lo:[0,1] neg_hi:[0,1]
	v_pk_add_f32 v[6:7], v[16:17], v[20:21]
	v_pk_fma_f32 v[0:1], -0.5, v[0:1], v[16:17] op_sel_hi:[0,1,1]
	v_pk_mul_f32 v[2:3], v[2:3], s[2:3] op_sel_hi:[1,0]
	v_pk_add_f32 v[4:5], v[6:7], v[4:5]
	v_pk_add_f32 v[6:7], v[0:1], v[2:3] op_sel:[0,1] op_sel_hi:[1,0] neg_lo:[0,1] neg_hi:[0,1]
	v_pk_add_f32 v[0:1], v[0:1], v[2:3] op_sel:[0,1] op_sel_hi:[1,0]
	v_mov_b32_e32 v2, v6
	v_mov_b32_e32 v3, v1
	global_store_dwordx2 v[8:9], v[4:5], off
	v_mov_b32_e32 v1, v7
	global_store_dwordx2 v[10:11], v[2:3], off
	global_store_dwordx2 v[18:19], v[0:1], off
.LBB0_26:
	s_endpgm
	.section	.rodata,"a",@progbits
	.p2align	6, 0x0
	.amdhsa_kernel fft_rtc_back_len1170_factors_2_13_3_5_3_wgs_117_tpt_117_sp_ip_CI_sbrr_dirReg
		.amdhsa_group_segment_fixed_size 0
		.amdhsa_private_segment_fixed_size 0
		.amdhsa_kernarg_size 88
		.amdhsa_user_sgpr_count 2
		.amdhsa_user_sgpr_dispatch_ptr 0
		.amdhsa_user_sgpr_queue_ptr 0
		.amdhsa_user_sgpr_kernarg_segment_ptr 1
		.amdhsa_user_sgpr_dispatch_id 0
		.amdhsa_user_sgpr_kernarg_preload_length 0
		.amdhsa_user_sgpr_kernarg_preload_offset 0
		.amdhsa_user_sgpr_private_segment_size 0
		.amdhsa_uses_dynamic_stack 0
		.amdhsa_enable_private_segment 0
		.amdhsa_system_sgpr_workgroup_id_x 1
		.amdhsa_system_sgpr_workgroup_id_y 0
		.amdhsa_system_sgpr_workgroup_id_z 0
		.amdhsa_system_sgpr_workgroup_info 0
		.amdhsa_system_vgpr_workitem_id 0
		.amdhsa_next_free_vgpr 158
		.amdhsa_next_free_sgpr 52
		.amdhsa_accum_offset 160
		.amdhsa_reserve_vcc 1
		.amdhsa_float_round_mode_32 0
		.amdhsa_float_round_mode_16_64 0
		.amdhsa_float_denorm_mode_32 3
		.amdhsa_float_denorm_mode_16_64 3
		.amdhsa_dx10_clamp 1
		.amdhsa_ieee_mode 1
		.amdhsa_fp16_overflow 0
		.amdhsa_tg_split 0
		.amdhsa_exception_fp_ieee_invalid_op 0
		.amdhsa_exception_fp_denorm_src 0
		.amdhsa_exception_fp_ieee_div_zero 0
		.amdhsa_exception_fp_ieee_overflow 0
		.amdhsa_exception_fp_ieee_underflow 0
		.amdhsa_exception_fp_ieee_inexact 0
		.amdhsa_exception_int_div_zero 0
	.end_amdhsa_kernel
	.text
.Lfunc_end0:
	.size	fft_rtc_back_len1170_factors_2_13_3_5_3_wgs_117_tpt_117_sp_ip_CI_sbrr_dirReg, .Lfunc_end0-fft_rtc_back_len1170_factors_2_13_3_5_3_wgs_117_tpt_117_sp_ip_CI_sbrr_dirReg
                                        ; -- End function
	.section	.AMDGPU.csdata,"",@progbits
; Kernel info:
; codeLenInByte = 9040
; NumSgprs: 58
; NumVgprs: 158
; NumAgprs: 0
; TotalNumVgprs: 158
; ScratchSize: 0
; MemoryBound: 0
; FloatMode: 240
; IeeeMode: 1
; LDSByteSize: 0 bytes/workgroup (compile time only)
; SGPRBlocks: 7
; VGPRBlocks: 19
; NumSGPRsForWavesPerEU: 58
; NumVGPRsForWavesPerEU: 158
; AccumOffset: 160
; Occupancy: 3
; WaveLimiterHint : 1
; COMPUTE_PGM_RSRC2:SCRATCH_EN: 0
; COMPUTE_PGM_RSRC2:USER_SGPR: 2
; COMPUTE_PGM_RSRC2:TRAP_HANDLER: 0
; COMPUTE_PGM_RSRC2:TGID_X_EN: 1
; COMPUTE_PGM_RSRC2:TGID_Y_EN: 0
; COMPUTE_PGM_RSRC2:TGID_Z_EN: 0
; COMPUTE_PGM_RSRC2:TIDIG_COMP_CNT: 0
; COMPUTE_PGM_RSRC3_GFX90A:ACCUM_OFFSET: 39
; COMPUTE_PGM_RSRC3_GFX90A:TG_SPLIT: 0
	.text
	.p2alignl 6, 3212836864
	.fill 256, 4, 3212836864
	.type	__hip_cuid_12fa168c7ab80c0b,@object ; @__hip_cuid_12fa168c7ab80c0b
	.section	.bss,"aw",@nobits
	.globl	__hip_cuid_12fa168c7ab80c0b
__hip_cuid_12fa168c7ab80c0b:
	.byte	0                               ; 0x0
	.size	__hip_cuid_12fa168c7ab80c0b, 1

	.ident	"AMD clang version 19.0.0git (https://github.com/RadeonOpenCompute/llvm-project roc-6.4.0 25133 c7fe45cf4b819c5991fe208aaa96edf142730f1d)"
	.section	".note.GNU-stack","",@progbits
	.addrsig
	.addrsig_sym __hip_cuid_12fa168c7ab80c0b
	.amdgpu_metadata
---
amdhsa.kernels:
  - .agpr_count:     0
    .args:
      - .actual_access:  read_only
        .address_space:  global
        .offset:         0
        .size:           8
        .value_kind:     global_buffer
      - .offset:         8
        .size:           8
        .value_kind:     by_value
      - .actual_access:  read_only
        .address_space:  global
        .offset:         16
        .size:           8
        .value_kind:     global_buffer
      - .actual_access:  read_only
        .address_space:  global
        .offset:         24
        .size:           8
        .value_kind:     global_buffer
      - .offset:         32
        .size:           8
        .value_kind:     by_value
      - .actual_access:  read_only
        .address_space:  global
        .offset:         40
        .size:           8
        .value_kind:     global_buffer
      - .actual_access:  read_only
        .address_space:  global
        .offset:         48
        .size:           8
        .value_kind:     global_buffer
      - .offset:         56
        .size:           4
        .value_kind:     by_value
      - .actual_access:  read_only
        .address_space:  global
        .offset:         64
        .size:           8
        .value_kind:     global_buffer
      - .actual_access:  read_only
        .address_space:  global
        .offset:         72
        .size:           8
        .value_kind:     global_buffer
      - .address_space:  global
        .offset:         80
        .size:           8
        .value_kind:     global_buffer
    .group_segment_fixed_size: 0
    .kernarg_segment_align: 8
    .kernarg_segment_size: 88
    .language:       OpenCL C
    .language_version:
      - 2
      - 0
    .max_flat_workgroup_size: 117
    .name:           fft_rtc_back_len1170_factors_2_13_3_5_3_wgs_117_tpt_117_sp_ip_CI_sbrr_dirReg
    .private_segment_fixed_size: 0
    .sgpr_count:     58
    .sgpr_spill_count: 0
    .symbol:         fft_rtc_back_len1170_factors_2_13_3_5_3_wgs_117_tpt_117_sp_ip_CI_sbrr_dirReg.kd
    .uniform_work_group_size: 1
    .uses_dynamic_stack: false
    .vgpr_count:     158
    .vgpr_spill_count: 0
    .wavefront_size: 64
amdhsa.target:   amdgcn-amd-amdhsa--gfx950
amdhsa.version:
  - 1
  - 2
...

	.end_amdgpu_metadata
